;; amdgpu-corpus repo=ROCm/rocFFT kind=compiled arch=gfx1201 opt=O3
	.text
	.amdgcn_target "amdgcn-amd-amdhsa--gfx1201"
	.amdhsa_code_object_version 6
	.protected	bluestein_single_back_len560_dim1_sp_op_CI_CI ; -- Begin function bluestein_single_back_len560_dim1_sp_op_CI_CI
	.globl	bluestein_single_back_len560_dim1_sp_op_CI_CI
	.p2align	8
	.type	bluestein_single_back_len560_dim1_sp_op_CI_CI,@function
bluestein_single_back_len560_dim1_sp_op_CI_CI: ; @bluestein_single_back_len560_dim1_sp_op_CI_CI
; %bb.0:
	s_load_b128 s[12:15], s[0:1], 0x28
	v_mul_u32_u24_e32 v1, 0x493, v0
	s_mov_b32 s2, exec_lo
	v_mov_b32_e32 v55, 0
	s_delay_alu instid0(VALU_DEP_2) | instskip(NEXT) | instid1(VALU_DEP_1)
	v_lshrrev_b32_e32 v1, 16, v1
	v_add_nc_u32_e32 v54, ttmp9, v1
	s_wait_kmcnt 0x0
	s_delay_alu instid0(VALU_DEP_1)
	v_cmpx_gt_u64_e64 s[12:13], v[54:55]
	s_cbranch_execz .LBB0_23
; %bb.1:
	s_clause 0x1
	s_load_b128 s[4:7], s[0:1], 0x18
	s_load_b64 s[12:13], s[0:1], 0x0
	v_mul_lo_u16 v1, v1, 56
	s_delay_alu instid0(VALU_DEP_1) | instskip(NEXT) | instid1(VALU_DEP_1)
	v_sub_nc_u16 v25, v0, v1
	v_and_b32_e32 v83, 0xffff, v25
	s_delay_alu instid0(VALU_DEP_1)
	v_lshlrev_b32_e32 v81, 3, v83
	s_wait_kmcnt 0x0
	s_load_b128 s[8:11], s[4:5], 0x0
	s_clause 0x5
	global_load_b64 v[59:60], v81, s[12:13]
	global_load_b64 v[63:64], v81, s[12:13] offset:560
	global_load_b64 v[65:66], v81, s[12:13] offset:1120
	;; [unrolled: 1-line block ×5, first 2 shown]
	s_wait_kmcnt 0x0
	v_mad_co_u64_u32 v[0:1], null, s10, v54, 0
	v_mad_co_u64_u32 v[2:3], null, s8, v83, 0
	s_mul_u64 s[2:3], s[8:9], 0x46
	s_delay_alu instid0(VALU_DEP_1) | instskip(NEXT) | instid1(VALU_DEP_1)
	v_mad_co_u64_u32 v[4:5], null, s11, v54, v[1:2]
	v_mad_co_u64_u32 v[5:6], null, s9, v83, v[3:4]
	v_mov_b32_e32 v1, v4
	s_delay_alu instid0(VALU_DEP_2) | instskip(NEXT) | instid1(VALU_DEP_1)
	v_mov_b32_e32 v3, v5
	v_lshlrev_b64_e32 v[5:6], 3, v[2:3]
	v_add_nc_u32_e32 v2, 0x800, v81
	s_delay_alu instid0(VALU_DEP_4) | instskip(NEXT) | instid1(VALU_DEP_1)
	v_lshlrev_b64_e32 v[0:1], 3, v[0:1]
	v_add_co_u32 v3, vcc_lo, s14, v0
	s_delay_alu instid0(VALU_DEP_2) | instskip(SKIP_1) | instid1(VALU_DEP_2)
	v_add_co_ci_u32_e32 v4, vcc_lo, s15, v1, vcc_lo
	s_lshl_b64 s[14:15], s[2:3], 3
	v_add_co_u32 v0, vcc_lo, v3, v5
	s_wait_alu 0xfffd
	s_delay_alu instid0(VALU_DEP_2) | instskip(SKIP_1) | instid1(VALU_DEP_2)
	v_add_co_ci_u32_e32 v1, vcc_lo, v4, v6, vcc_lo
	s_wait_alu 0xfffe
	v_add_co_u32 v5, vcc_lo, v0, s14
	s_wait_alu 0xfffd
	s_delay_alu instid0(VALU_DEP_2)
	v_add_co_ci_u32_e32 v6, vcc_lo, s15, v1, vcc_lo
	global_load_b64 v[9:10], v[0:1], off
	v_add_co_u32 v7, vcc_lo, v5, s14
	s_wait_alu 0xfffd
	v_add_co_ci_u32_e32 v8, vcc_lo, s15, v6, vcc_lo
	global_load_b64 v[5:6], v[5:6], off
	v_add_co_u32 v0, vcc_lo, v7, s14
	s_wait_alu 0xfffd
	v_add_co_ci_u32_e32 v1, vcc_lo, s15, v8, vcc_lo
	s_clause 0x1
	global_load_b64 v[7:8], v[7:8], off
	global_load_b64 v[13:14], v[0:1], off
	v_add_co_u32 v11, vcc_lo, v0, s14
	s_wait_alu 0xfffd
	v_add_co_ci_u32_e32 v12, vcc_lo, s15, v1, vcc_lo
	s_delay_alu instid0(VALU_DEP_2) | instskip(SKIP_1) | instid1(VALU_DEP_2)
	v_add_co_u32 v0, vcc_lo, v11, s14
	s_wait_alu 0xfffd
	v_add_co_ci_u32_e32 v1, vcc_lo, s15, v12, vcc_lo
	global_load_b64 v[11:12], v[11:12], off
	v_add_co_u32 v15, vcc_lo, v0, s14
	s_wait_alu 0xfffd
	v_add_co_ci_u32_e32 v16, vcc_lo, s15, v1, vcc_lo
	global_load_b64 v[17:18], v[0:1], off
	v_add_co_u32 v0, vcc_lo, v15, s14
	s_wait_alu 0xfffd
	v_add_co_ci_u32_e32 v1, vcc_lo, s15, v16, vcc_lo
	v_cmp_gt_u16_e32 vcc_lo, 14, v25
	s_wait_loadcnt 0x5
	v_mul_f32_e32 v21, v10, v60
	v_mul_f32_e32 v22, v9, v60
	v_or_b32_e32 v82, 0x150, v83
	s_wait_loadcnt 0x4
	v_mul_f32_e32 v24, v5, v64
	global_load_b64 v[15:16], v[15:16], off
	s_clause 0x1
	global_load_b64 v[67:68], v81, s[12:13] offset:3360
	global_load_b64 v[69:70], v81, s[12:13] offset:3920
	global_load_b64 v[19:20], v[0:1], off
	v_fmac_f32_e32 v21, v9, v59
	v_mul_f32_e32 v9, v6, v64
	s_load_b64 s[10:11], s[0:1], 0x38
	s_load_b128 s[4:7], s[6:7], 0x0
	v_fma_f32 v22, v10, v59, -v22
	s_wait_loadcnt 0x7
	v_mul_f32_e32 v26, v7, v66
	v_mul_f32_e32 v23, v8, v66
	v_fmac_f32_e32 v9, v5, v63
	s_wait_loadcnt 0x6
	v_mul_f32_e32 v5, v14, v58
	v_fma_f32 v10, v6, v63, -v24
	v_fma_f32 v24, v8, v65, -v26
	v_dual_fmac_f32 v23, v7, v65 :: v_dual_mul_f32 v6, v13, v58
	s_delay_alu instid0(VALU_DEP_4)
	v_fmac_f32_e32 v5, v13, v57
	v_add_co_u32 v52, s2, s12, v81
	s_wait_loadcnt 0x5
	v_mul_f32_e32 v8, v11, v62
	v_mul_f32_e32 v7, v12, v62
	v_add_co_ci_u32_e64 v53, null, s13, 0, s2
	v_fma_f32 v6, v14, v57, -v6
	s_wait_loadcnt 0x4
	v_mul_f32_e32 v13, v18, v56
	v_fma_f32 v8, v12, v61, -v8
	v_dual_mul_f32 v12, v17, v56 :: v_dual_fmac_f32 v7, v11, v61
	s_delay_alu instid0(VALU_DEP_3) | instskip(NEXT) | instid1(VALU_DEP_2)
	v_fmac_f32_e32 v13, v17, v55
	v_fma_f32 v14, v18, v55, -v12
	s_wait_loadcnt 0x2
	v_mul_f32_e32 v26, v15, v68
	v_mul_f32_e32 v11, v16, v68
	s_wait_loadcnt 0x0
	v_mul_f32_e32 v17, v20, v70
	v_mul_f32_e32 v27, v19, v70
	v_fma_f32 v12, v16, v67, -v26
	v_fmac_f32_e32 v11, v15, v67
	s_delay_alu instid0(VALU_DEP_4) | instskip(NEXT) | instid1(VALU_DEP_4)
	v_fmac_f32_e32 v17, v19, v69
	v_fma_f32 v18, v20, v69, -v27
	ds_store_2addr_b64 v81, v[21:22], v[9:10] offset1:70
	ds_store_2addr_b64 v81, v[23:24], v[5:6] offset0:140 offset1:210
	ds_store_2addr_b64 v2, v[7:8], v[13:14] offset0:24 offset1:94
	;; [unrolled: 1-line block ×3, first 2 shown]
	s_and_saveexec_b32 s3, vcc_lo
	s_cbranch_execz .LBB0_3
; %bb.2:
	v_mad_co_u64_u32 v[0:1], null, 0xfffff270, s8, v[0:1]
	s_mul_i32 s2, s9, 0xfffff270
	v_mad_co_u64_u32 v[5:6], null, s8, v82, 0
	s_wait_alu 0xfffe
	s_sub_co_i32 s2, s2, s8
	s_wait_alu 0xfffe
	s_delay_alu instid0(VALU_DEP_2) | instskip(NEXT) | instid1(VALU_DEP_3)
	v_add_nc_u32_e32 v1, s2, v1
	v_add_co_u32 v7, s2, v0, s14
	s_delay_alu instid0(VALU_DEP_1) | instskip(NEXT) | instid1(VALU_DEP_1)
	v_mad_co_u64_u32 v[11:12], null, s9, v82, v[6:7]
	v_mov_b32_e32 v6, v11
	s_wait_alu 0xf1ff
	v_add_co_ci_u32_e64 v8, s2, s15, v1, s2
	v_add_co_u32 v9, s2, v7, s14
	s_clause 0x3
	global_load_b64 v[16:17], v[52:53], off offset:448
	global_load_b64 v[18:19], v[52:53], off offset:1008
	;; [unrolled: 1-line block ×4, first 2 shown]
	global_load_b64 v[0:1], v[0:1], off
	s_wait_alu 0xf1ff
	v_add_co_ci_u32_e64 v10, s2, s15, v8, s2
	v_add_co_u32 v12, s2, v9, s14
	v_lshlrev_b64_e32 v[5:6], 3, v[5:6]
	s_wait_alu 0xf1ff
	s_delay_alu instid0(VALU_DEP_3)
	v_add_co_ci_u32_e64 v13, s2, s15, v10, s2
	global_load_b64 v[7:8], v[7:8], off
	global_load_b64 v[9:10], v[9:10], off
	v_mad_co_u64_u32 v[14:15], null, 0x460, s8, v[12:13]
	v_add_co_u32 v3, s2, v3, v5
	s_wait_alu 0xf1ff
	v_add_co_ci_u32_e64 v4, s2, v4, v6, s2
	s_delay_alu instid0(VALU_DEP_3) | instskip(NEXT) | instid1(VALU_DEP_4)
	v_mov_b32_e32 v11, v15
	v_add_co_u32 v27, s2, v14, s14
	s_delay_alu instid0(VALU_DEP_2)
	v_mad_co_u64_u32 v[24:25], null, 0x460, s9, v[11:12]
	s_clause 0x1
	global_load_b64 v[5:6], v[52:53], off offset:2688
	global_load_b64 v[25:26], v[52:53], off offset:3248
	global_load_b64 v[11:12], v[12:13], off
	global_load_b64 v[3:4], v[3:4], off
	v_dual_mov_b32 v15, v24 :: v_dual_add_nc_u32 v24, 0x400, v81
	s_wait_alu 0xf1ff
	s_delay_alu instid0(VALU_DEP_1)
	v_add_co_ci_u32_e64 v28, s2, s15, v15, s2
	global_load_b64 v[13:14], v[14:15], off
	v_add_co_u32 v29, s2, v27, s14
	s_wait_alu 0xf1ff
	v_add_co_ci_u32_e64 v30, s2, s15, v28, s2
	global_load_b64 v[27:28], v[27:28], off
	s_clause 0x1
	global_load_b64 v[31:32], v[52:53], off offset:3808
	global_load_b64 v[33:34], v[52:53], off offset:4368
	global_load_b64 v[29:30], v[29:30], off
	s_wait_loadcnt 0xb
	v_mul_f32_e32 v15, v1, v17
	v_mul_f32_e32 v35, v0, v17
	s_delay_alu instid0(VALU_DEP_2) | instskip(NEXT) | instid1(VALU_DEP_2)
	v_fmac_f32_e32 v15, v0, v16
	v_fma_f32 v16, v1, v16, -v35
	s_wait_loadcnt 0x9
	v_dual_mul_f32 v0, v8, v19 :: v_dual_mul_f32 v17, v10, v21
	v_mul_f32_e32 v19, v7, v19
	s_delay_alu instid0(VALU_DEP_2) | instskip(NEXT) | instid1(VALU_DEP_3)
	v_dual_mul_f32 v21, v9, v21 :: v_dual_fmac_f32 v0, v7, v18
	v_fmac_f32_e32 v17, v9, v20
	s_delay_alu instid0(VALU_DEP_3) | instskip(NEXT) | instid1(VALU_DEP_3)
	v_fma_f32 v1, v8, v18, -v19
	v_fma_f32 v18, v10, v20, -v21
	s_wait_loadcnt 0x6
	v_mul_f32_e32 v7, v12, v23
	s_wait_loadcnt 0x5
	v_mul_f32_e32 v9, v4, v6
	v_mul_f32_e32 v6, v3, v6
	;; [unrolled: 1-line block ×3, first 2 shown]
	v_fmac_f32_e32 v7, v11, v22
	s_delay_alu instid0(VALU_DEP_4) | instskip(NEXT) | instid1(VALU_DEP_4)
	v_fmac_f32_e32 v9, v3, v5
	v_fma_f32 v10, v4, v5, -v6
	s_delay_alu instid0(VALU_DEP_4)
	v_fma_f32 v8, v12, v22, -v8
	s_wait_loadcnt 0x4
	v_mul_f32_e32 v4, v13, v26
	v_mul_f32_e32 v11, v14, v26
	s_wait_loadcnt 0x2
	v_mul_f32_e32 v3, v28, v32
	s_wait_loadcnt 0x0
	v_dual_mul_f32 v6, v27, v32 :: v_dual_mul_f32 v5, v30, v34
	v_fmac_f32_e32 v11, v13, v25
	v_mul_f32_e32 v13, v29, v34
	v_fma_f32 v12, v14, v25, -v4
	v_fmac_f32_e32 v3, v27, v31
	v_fma_f32 v4, v28, v31, -v6
	v_fmac_f32_e32 v5, v29, v33
	v_fma_f32 v6, v30, v33, -v13
	v_add_nc_u32_e32 v13, 0xc00, v81
	ds_store_2addr_b64 v81, v[15:16], v[0:1] offset0:56 offset1:126
	ds_store_2addr_b64 v24, v[17:18], v[7:8] offset0:68 offset1:138
	ds_store_2addr_b64 v2, v[9:10], v[11:12] offset0:80 offset1:150
	ds_store_2addr_b64 v13, v[3:4], v[5:6] offset0:92 offset1:162
.LBB0_3:
	s_wait_alu 0xfffe
	s_or_b32 exec_lo, exec_lo, s3
	global_wb scope:SCOPE_SE
	s_wait_dscnt 0x0
	s_wait_kmcnt 0x0
	s_barrier_signal -1
	s_barrier_wait -1
	global_inv scope:SCOPE_SE
	ds_load_2addr_b64 v[22:25], v81 offset1:70
	ds_load_2addr_b64 v[8:11], v81 offset0:140 offset1:210
	ds_load_2addr_b64 v[30:33], v2 offset0:24 offset1:94
	;; [unrolled: 1-line block ×3, first 2 shown]
                                        ; implicit-def: $vgpr6
                                        ; implicit-def: $vgpr20
                                        ; implicit-def: $vgpr2
                                        ; implicit-def: $vgpr16
	s_and_saveexec_b32 s2, vcc_lo
	s_cbranch_execz .LBB0_5
; %bb.4:
	v_add_nc_u32_e32 v0, 0x400, v81
	v_add_nc_u32_e32 v4, 0x800, v81
	;; [unrolled: 1-line block ×3, first 2 shown]
	ds_load_2addr_b64 v[14:17], v81 offset0:56 offset1:126
	ds_load_2addr_b64 v[0:3], v0 offset0:68 offset1:138
	;; [unrolled: 1-line block ×4, first 2 shown]
.LBB0_5:
	s_wait_alu 0xfffe
	s_or_b32 exec_lo, exec_lo, s2
	s_wait_dscnt 0x1
	v_dual_sub_f32 v12, v22, v30 :: v_dual_sub_f32 v13, v23, v31
	v_dual_sub_f32 v30, v24, v32 :: v_dual_sub_f32 v31, v25, v33
	s_wait_dscnt 0x0
	v_dual_sub_f32 v28, v10, v28 :: v_dual_sub_f32 v29, v11, v29
	v_dual_sub_f32 v26, v8, v26 :: v_dual_sub_f32 v27, v9, v27
	s_delay_alu instid0(VALU_DEP_3) | instskip(NEXT) | instid1(VALU_DEP_3)
	v_fma_f32 v24, v24, 2.0, -v30
	v_fma_f32 v10, v10, 2.0, -v28
	;; [unrolled: 1-line block ×3, first 2 shown]
	s_delay_alu instid0(VALU_DEP_4)
	v_fma_f32 v8, v8, 2.0, -v26
	v_dual_sub_f32 v32, v12, v27 :: v_dual_add_f32 v33, v13, v26
	v_fma_f32 v11, v11, 2.0, -v29
	v_dual_sub_f32 v34, v24, v10 :: v_dual_sub_f32 v29, v30, v29
	v_fma_f32 v23, v23, 2.0, -v13
	v_fma_f32 v9, v9, 2.0, -v27
	;; [unrolled: 1-line block ×3, first 2 shown]
	v_sub_f32_e32 v8, v22, v8
	v_fma_f32 v12, v12, 2.0, -v32
	v_fma_f32 v30, v30, 2.0, -v29
	v_sub_f32_e32 v9, v23, v9
	v_add_f32_e32 v28, v31, v28
	v_fma_f32 v22, v22, 2.0, -v8
	v_fma_f32 v13, v13, 2.0, -v33
	v_fmamk_f32 v26, v30, 0xbf3504f3, v12
	v_fma_f32 v23, v23, 2.0, -v9
	v_fma_f32 v31, v31, 2.0, -v28
	v_sub_f32_e32 v10, v25, v11
	v_fma_f32 v11, v24, 2.0, -v34
	v_dual_sub_f32 v5, v1, v5 :: v_dual_sub_f32 v4, v0, v4
	v_sub_f32_e32 v7, v3, v7
	v_fmamk_f32 v27, v31, 0xbf3504f3, v13
	v_fma_f32 v25, v25, 2.0, -v10
	v_dual_sub_f32 v24, v22, v11 :: v_dual_add_f32 v11, v9, v34
	v_fmac_f32_e32 v26, 0xbf3504f3, v31
	s_delay_alu instid0(VALU_DEP_4)
	v_fmac_f32_e32 v27, 0x3f3504f3, v30
	v_sub_f32_e32 v10, v8, v10
	v_fma_f32 v0, v0, 2.0, -v4
	v_fma_f32 v41, v9, 2.0, -v11
	v_sub_f32_e32 v9, v15, v19
	v_fma_f32 v38, v12, 2.0, -v26
	v_fmamk_f32 v12, v29, 0x3f3504f3, v32
	v_fma_f32 v39, v13, 2.0, -v27
	v_fmamk_f32 v13, v28, 0x3f3504f3, v33
	v_fma_f32 v40, v8, 2.0, -v10
	v_sub_f32_e32 v8, v14, v18
	v_dual_fmac_f32 v12, 0xbf3504f3, v28 :: v_dual_sub_f32 v19, v17, v21
	s_delay_alu instid0(VALU_DEP_4) | instskip(SKIP_1) | instid1(VALU_DEP_4)
	v_fmac_f32_e32 v13, 0x3f3504f3, v29
	v_fma_f32 v15, v15, 2.0, -v9
	v_fma_f32 v14, v14, 2.0, -v8
	v_sub_f32_e32 v6, v2, v6
	v_fma_f32 v1, v1, 2.0, -v5
	v_sub_f32_e32 v5, v8, v5
	v_sub_f32_e32 v18, v16, v20
	v_fma_f32 v17, v17, 2.0, -v19
	v_fma_f32 v3, v3, 2.0, -v7
	v_sub_f32_e32 v1, v15, v1
	v_fma_f32 v2, v2, 2.0, -v6
	v_fma_f32 v16, v16, 2.0, -v18
	s_delay_alu instid0(VALU_DEP_4) | instskip(SKIP_3) | instid1(VALU_DEP_4)
	v_dual_sub_f32 v0, v14, v0 :: v_dual_sub_f32 v3, v17, v3
	v_dual_add_f32 v4, v4, v9 :: v_dual_sub_f32 v7, v18, v7
	v_fma_f32 v15, v15, 2.0, -v1
	v_sub_f32_e32 v25, v23, v25
	v_fma_f32 v17, v17, 2.0, -v3
	s_delay_alu instid0(VALU_DEP_4)
	v_fma_f32 v9, v9, 2.0, -v4
	v_add_f32_e32 v6, v6, v19
	v_sub_f32_e32 v2, v16, v2
	v_fma_f32 v14, v14, 2.0, -v0
	v_sub_f32_e32 v21, v15, v17
	v_fma_f32 v37, v23, 2.0, -v25
	v_fma_f32 v19, v19, 2.0, -v6
	;; [unrolled: 1-line block ×5, first 2 shown]
	s_load_b64 s[2:3], s[0:1], 0x8
	s_delay_alu instid0(VALU_DEP_3) | instskip(SKIP_3) | instid1(VALU_DEP_4)
	v_dual_fmamk_f32 v23, v19, 0xbf3504f3, v9 :: v_dual_sub_f32 v20, v14, v16
	v_sub_f32_e32 v16, v0, v3
	v_lshlrev_b16 v3, 3, v83
	v_fma_f32 v36, v22, 2.0, -v24
	v_fmac_f32_e32 v23, 0x3f3504f3, v18
	v_fma_f32 v42, v32, 2.0, -v12
	v_fma_f32 v32, v0, 2.0, -v16
	v_and_b32_e32 v0, 0xffff, v3
	v_fmamk_f32 v22, v18, 0xbf3504f3, v8
	v_fmamk_f32 v18, v7, 0x3f3504f3, v5
	v_add_co_u32 v44, null, v83, 56
	s_delay_alu instid0(VALU_DEP_3)
	v_dual_fmac_f32 v22, 0xbf3504f3, v19 :: v_dual_lshlrev_b32 v87, 3, v0
	v_add_f32_e32 v17, v2, v1
	v_fmamk_f32 v19, v6, 0x3f3504f3, v4
	v_fmac_f32_e32 v18, 0xbf3504f3, v6
	v_fma_f32 v43, v33, 2.0, -v13
	v_fma_f32 v28, v14, 2.0, -v20
	;; [unrolled: 1-line block ×3, first 2 shown]
	v_dual_fmac_f32 v19, 0x3f3504f3, v7 :: v_dual_lshlrev_b32 v86, 6, v44
	v_fma_f32 v30, v8, 2.0, -v22
	v_fma_f32 v31, v9, 2.0, -v23
	;; [unrolled: 1-line block ×5, first 2 shown]
	global_wb scope:SCOPE_SE
	s_wait_kmcnt 0x0
	s_barrier_signal -1
	s_barrier_wait -1
	global_inv scope:SCOPE_SE
	ds_store_b128 v87, v[36:39]
	ds_store_b128 v87, v[40:43] offset:16
	ds_store_b128 v87, v[24:27] offset:32
	;; [unrolled: 1-line block ×3, first 2 shown]
	s_and_saveexec_b32 s0, vcc_lo
	s_cbranch_execz .LBB0_7
; %bb.6:
	ds_store_b128 v86, v[28:31]
	ds_store_b128 v86, v[32:35] offset:16
	ds_store_b128 v86, v[20:23] offset:32
	;; [unrolled: 1-line block ×3, first 2 shown]
.LBB0_7:
	s_wait_alu 0xfffe
	s_or_b32 exec_lo, exec_lo, s0
	v_add_nc_u32_e32 v0, 0x800, v81
	global_wb scope:SCOPE_SE
	s_wait_dscnt 0x0
	s_barrier_signal -1
	s_barrier_wait -1
	global_inv scope:SCOPE_SE
	ds_load_2addr_b64 v[24:27], v81 offset1:80
	ds_load_2addr_b64 v[40:43], v81 offset0:160 offset1:240
	ds_load_2addr_b64 v[36:39], v0 offset0:64 offset1:144
	ds_load_b64 v[14:15], v81 offset:3840
	v_cmp_gt_u16_e64 s0, 24, v83
	s_delay_alu instid0(VALU_DEP_1)
	s_and_saveexec_b32 s1, s0
	s_cbranch_execz .LBB0_9
; %bb.8:
	ds_load_2addr_b64 v[0:3], v0 offset0:120 offset1:200
	s_wait_dscnt 0x0
	v_dual_mov_b32 v21, v3 :: v_dual_add_nc_u32 v8, 0x400, v81
	ds_load_2addr_b64 v[4:7], v81 offset0:56 offset1:136
	ds_load_2addr_b64 v[8:11], v8 offset0:88 offset1:168
	ds_load_b64 v[22:23], v81 offset:4288
	v_dual_mov_b32 v20, v2 :: v_dual_mov_b32 v35, v1
	s_wait_dscnt 0x2
	v_dual_mov_b32 v34, v0 :: v_dual_mov_b32 v29, v7
	s_wait_dscnt 0x1
	v_dual_mov_b32 v28, v6 :: v_dual_mov_b32 v33, v11
	v_dual_mov_b32 v12, v4 :: v_dual_mov_b32 v31, v9
	;; [unrolled: 1-line block ×3, first 2 shown]
	v_mov_b32_e32 v30, v8
.LBB0_9:
	s_wait_alu 0xfffe
	s_or_b32 exec_lo, exec_lo, s1
	v_and_b32_e32 v84, 7, v83
	v_lshrrev_b32_e32 v45, 3, v83
	v_lshrrev_b32_e32 v85, 3, v44
	s_delay_alu instid0(VALU_DEP_3) | instskip(NEXT) | instid1(VALU_DEP_3)
	v_mul_u32_u24_e32 v0, 6, v84
	v_mul_u32_u24_e32 v45, 56, v45
	s_delay_alu instid0(VALU_DEP_2) | instskip(NEXT) | instid1(VALU_DEP_2)
	v_lshlrev_b32_e32 v8, 3, v0
	v_or_b32_e32 v44, v45, v84
	s_clause 0x2
	global_load_b128 v[4:7], v8, s[2:3]
	global_load_b128 v[0:3], v8, s[2:3] offset:16
	global_load_b128 v[8:11], v8, s[2:3] offset:32
	v_lshlrev_b32_e32 v88, 3, v44
	global_wb scope:SCOPE_SE
	s_wait_loadcnt_dscnt 0x0
	s_barrier_signal -1
	s_barrier_wait -1
	global_inv scope:SCOPE_SE
	v_dual_mul_f32 v44, v27, v5 :: v_dual_mul_f32 v51, v36, v3
	v_dual_mul_f32 v45, v26, v5 :: v_dual_mul_f32 v46, v41, v7
	v_mul_f32_e32 v71, v39, v9
	v_dual_mul_f32 v47, v40, v7 :: v_dual_mul_f32 v48, v43, v1
	v_dual_mul_f32 v49, v42, v1 :: v_dual_mul_f32 v50, v37, v3
	s_delay_alu instid0(VALU_DEP_4)
	v_dual_fmac_f32 v45, v27, v4 :: v_dual_mul_f32 v72, v38, v9
	v_mul_f32_e32 v73, v15, v11
	v_dual_mul_f32 v74, v14, v11 :: v_dual_mul_f32 v75, v29, v5
	v_dual_mul_f32 v76, v28, v5 :: v_dual_mul_f32 v77, v31, v7
	;; [unrolled: 1-line block ×6, first 2 shown]
	v_dual_mul_f32 v94, v22, v11 :: v_dual_fmac_f32 v49, v43, v0
	v_fma_f32 v26, v26, v4, -v44
	v_fma_f32 v27, v40, v6, -v46
	v_fmac_f32_e32 v47, v41, v6
	v_fma_f32 v40, v42, v0, -v48
	v_fma_f32 v36, v36, v2, -v50
	v_dual_fmac_f32 v51, v37, v2 :: v_dual_fmac_f32 v72, v39, v8
	v_fma_f32 v37, v38, v8, -v71
	v_fma_f32 v14, v14, v10, -v73
	v_fmac_f32_e32 v74, v15, v10
	v_fma_f32 v15, v28, v4, -v75
	v_fmac_f32_e32 v76, v29, v4
	v_fma_f32 v28, v30, v6, -v77
	v_fma_f32 v29, v32, v0, -v79
	;; [unrolled: 1-line block ×3, first 2 shown]
	v_fmac_f32_e32 v78, v31, v6
	v_fmac_f32_e32 v80, v33, v0
	v_fma_f32 v20, v20, v8, -v91
	v_fmac_f32_e32 v92, v21, v8
	v_fma_f32 v21, v22, v10, -v93
	v_dual_add_f32 v22, v26, v14 :: v_dual_sub_f32 v33, v47, v72
	v_add_f32_e32 v31, v27, v37
	v_add_f32_e32 v32, v47, v72
	v_fmac_f32_e32 v94, v23, v10
	v_dual_sub_f32 v27, v27, v37 :: v_dual_add_f32 v34, v40, v36
	v_dual_sub_f32 v37, v51, v49 :: v_dual_add_f32 v42, v29, v30
	v_dual_sub_f32 v29, v30, v29 :: v_dual_fmac_f32 v90, v35, v2
	v_add_f32_e32 v41, v78, v92
	v_add_f32_e32 v35, v49, v51
	v_dual_add_f32 v23, v45, v74 :: v_dual_sub_f32 v36, v36, v40
	v_sub_f32_e32 v14, v26, v14
	v_sub_f32_e32 v26, v45, v74
	v_add_f32_e32 v40, v28, v20
	v_dual_sub_f32 v20, v28, v20 :: v_dual_add_f32 v49, v37, v33
	v_dual_sub_f32 v28, v78, v92 :: v_dual_add_f32 v43, v80, v90
	v_dual_sub_f32 v30, v90, v80 :: v_dual_sub_f32 v51, v37, v33
	s_delay_alu instid0(VALU_DEP_3)
	v_dual_add_f32 v44, v31, v22 :: v_dual_add_f32 v75, v29, v20
	v_dual_add_f32 v45, v32, v23 :: v_dual_add_f32 v38, v15, v21
	v_add_f32_e32 v39, v76, v94
	v_sub_f32_e32 v15, v15, v21
	v_sub_f32_e32 v21, v76, v94
	v_dual_sub_f32 v46, v31, v22 :: v_dual_sub_f32 v77, v29, v20
	v_dual_sub_f32 v47, v32, v23 :: v_dual_sub_f32 v22, v22, v34
	v_sub_f32_e32 v23, v23, v35
	v_dual_sub_f32 v32, v35, v32 :: v_dual_sub_f32 v33, v33, v26
	v_add_f32_e32 v48, v36, v27
	v_sub_f32_e32 v50, v36, v27
	v_sub_f32_e32 v31, v34, v31
	v_dual_sub_f32 v36, v14, v36 :: v_dual_add_f32 v71, v40, v38
	v_sub_f32_e32 v37, v26, v37
	v_dual_sub_f32 v27, v27, v14 :: v_dual_add_f32 v72, v41, v39
	v_dual_sub_f32 v73, v40, v38 :: v_dual_sub_f32 v74, v41, v39
	v_dual_sub_f32 v29, v15, v29 :: v_dual_sub_f32 v38, v38, v42
	v_add_f32_e32 v45, v35, v45
	v_dual_sub_f32 v39, v39, v43 :: v_dual_sub_f32 v40, v42, v40
	v_dual_sub_f32 v41, v43, v41 :: v_dual_add_f32 v76, v30, v28
	v_dual_mul_f32 v51, 0xbf08b237, v51 :: v_dual_sub_f32 v78, v30, v28
	v_dual_mul_f32 v79, 0x3f5ff5aa, v27 :: v_dual_sub_f32 v30, v21, v30
	v_sub_f32_e32 v28, v28, v21
	v_add_f32_e32 v44, v34, v44
	v_add_f32_e32 v48, v48, v14
	;; [unrolled: 1-line block ×3, first 2 shown]
	v_dual_mul_f32 v14, 0x3f4a47b2, v22 :: v_dual_add_f32 v35, v25, v45
	v_mul_f32_e32 v22, 0x3f4a47b2, v23
	v_mul_f32_e32 v49, 0x3d64c772, v32
	;; [unrolled: 1-line block ×3, first 2 shown]
	v_dual_sub_f32 v20, v20, v15 :: v_dual_add_f32 v43, v43, v72
	v_mul_f32_e32 v23, 0x3d64c772, v31
	v_mul_f32_e32 v80, 0x3f5ff5aa, v33
	v_dual_add_f32 v42, v42, v71 :: v_dual_fmamk_f32 v25, v32, 0x3d64c772, v22
	v_dual_add_f32 v71, v75, v15 :: v_dual_add_f32 v72, v76, v21
	v_add_f32_e32 v13, v13, v43
	v_mul_f32_e32 v15, 0x3f4a47b2, v38
	v_mul_f32_e32 v21, 0x3f4a47b2, v39
	v_dual_mul_f32 v38, 0x3d64c772, v40 :: v_dual_mul_f32 v39, 0x3d64c772, v41
	v_mul_f32_e32 v75, 0xbf08b237, v77
	v_fma_f32 v32, 0xbf3bfb3b, v46, -v14
	v_mul_f32_e32 v76, 0xbf08b237, v78
	v_add_f32_e32 v34, v24, v44
	v_fmamk_f32 v24, v31, 0x3d64c772, v14
	v_fma_f32 v31, 0x3f3bfb3b, v47, -v49
	v_mul_f32_e32 v78, 0x3f5ff5aa, v28
	v_fma_f32 v27, 0x3f5ff5aa, v27, -v50
	v_mul_f32_e32 v77, 0x3f5ff5aa, v20
	v_fma_f32 v23, 0x3f3bfb3b, v46, -v23
	v_fmamk_f32 v46, v37, 0x3eae86e6, v51
	v_fma_f32 v49, 0x3f5ff5aa, v33, -v51
	v_fma_f32 v51, 0xbeae86e6, v37, -v80
	v_fmamk_f32 v33, v40, 0x3d64c772, v15
	v_fma_f32 v37, 0x3f3bfb3b, v73, -v38
	v_fma_f32 v38, 0x3f3bfb3b, v74, -v39
	;; [unrolled: 1-line block ×3, first 2 shown]
	v_fmamk_f32 v15, v30, 0x3eae86e6, v76
	v_fma_f32 v73, 0x3f5ff5aa, v20, -v75
	v_fma_f32 v20, 0xbeae86e6, v30, -v78
	v_fmac_f32_e32 v27, 0x3ee1c552, v48
	v_fmamk_f32 v30, v45, 0xbf955555, v35
	v_fma_f32 v40, 0xbf3bfb3b, v74, -v21
	v_fmamk_f32 v14, v29, 0x3eae86e6, v75
	v_fmac_f32_e32 v51, 0x3ee1c552, v26
	v_dual_fmac_f32 v73, 0x3ee1c552, v71 :: v_dual_fmac_f32 v20, 0x3ee1c552, v72
	v_add_f32_e32 v25, v25, v30
	v_fma_f32 v22, 0xbf3bfb3b, v47, -v22
	v_fmamk_f32 v47, v36, 0x3eae86e6, v50
	v_fma_f32 v50, 0xbeae86e6, v36, -v79
	v_add_f32_e32 v12, v12, v42
	v_fmamk_f32 v36, v41, 0x3d64c772, v21
	v_fma_f32 v21, 0xbeae86e6, v29, -v77
	v_fmamk_f32 v29, v44, 0xbf955555, v34
	v_add_f32_e32 v31, v31, v30
	v_dual_add_f32 v30, v22, v30 :: v_dual_fmamk_f32 v41, v43, 0xbf955555, v13
	v_fmac_f32_e32 v47, 0x3ee1c552, v48
	v_dual_fmac_f32 v49, 0x3ee1c552, v26 :: v_dual_fmac_f32 v50, 0x3ee1c552, v48
	v_fmac_f32_e32 v14, 0x3ee1c552, v71
	v_fmac_f32_e32 v21, 0x3ee1c552, v71
	v_dual_add_f32 v71, v38, v41 :: v_dual_fmac_f32 v46, 0x3ee1c552, v26
	v_fmac_f32_e32 v15, 0x3ee1c552, v72
	v_fmamk_f32 v26, v42, 0xbf955555, v12
	v_add_f32_e32 v42, v23, v29
	v_sub_f32_e32 v43, v31, v27
	v_add_f32_e32 v45, v50, v30
	s_delay_alu instid0(VALU_DEP_4)
	v_add_f32_e32 v48, v37, v26
	v_sub_f32_e32 v37, v25, v47
	v_dual_add_f32 v47, v47, v25 :: v_dual_add_f32 v22, v33, v26
	v_add_f32_e32 v33, v40, v41
	v_add_f32_e32 v23, v36, v41
	;; [unrolled: 1-line block ×4, first 2 shown]
	v_fma_f32 v28, 0x3f5ff5aa, v28, -v76
	v_dual_add_f32 v32, v39, v26 :: v_dual_add_f32 v25, v73, v71
	s_delay_alu instid0(VALU_DEP_4) | instskip(NEXT) | instid1(VALU_DEP_3)
	v_add_f32_e32 v36, v46, v24
	v_dual_sub_f32 v39, v30, v50 :: v_dual_fmac_f32 v28, 0x3ee1c552, v72
	v_add_f32_e32 v38, v51, v29
	v_dual_sub_f32 v40, v42, v49 :: v_dual_add_f32 v41, v27, v31
	v_dual_add_f32 v42, v49, v42 :: v_dual_add_f32 v31, v14, v23
	v_sub_f32_e32 v44, v29, v51
	v_dual_sub_f32 v46, v24, v46 :: v_dual_add_f32 v29, v21, v33
	v_sub_f32_e32 v24, v48, v28
	v_dual_add_f32 v26, v28, v48 :: v_dual_sub_f32 v27, v71, v73
	v_sub_f32_e32 v28, v32, v20
	v_sub_f32_e32 v30, v22, v15
	ds_store_2addr_b64 v88, v[34:35], v[36:37] offset1:8
	ds_store_2addr_b64 v88, v[38:39], v[40:41] offset0:16 offset1:24
	ds_store_2addr_b64 v88, v[42:43], v[44:45] offset0:32 offset1:40
	ds_store_b64 v88, v[46:47] offset:384
	s_and_saveexec_b32 s1, s0
	s_cbranch_execz .LBB0_11
; %bb.10:
	v_mul_u32_u24_e32 v34, 56, v85
	v_dual_sub_f32 v21, v33, v21 :: v_dual_add_f32 v22, v15, v22
	v_dual_sub_f32 v23, v23, v14 :: v_dual_add_f32 v20, v20, v32
	s_delay_alu instid0(VALU_DEP_3) | instskip(NEXT) | instid1(VALU_DEP_1)
	v_or_b32_e32 v34, v34, v84
	v_lshlrev_b32_e32 v14, 3, v34
	ds_store_2addr_b64 v14, v[12:13], v[22:23] offset1:8
	ds_store_2addr_b64 v14, v[20:21], v[24:25] offset0:16 offset1:24
	ds_store_2addr_b64 v14, v[26:27], v[28:29] offset0:32 offset1:40
	ds_store_b64 v14, v[30:31] offset:384
.LBB0_11:
	s_wait_alu 0xfffe
	s_or_b32 exec_lo, exec_lo, s1
	v_lshlrev_b32_e32 v41, 5, v83
	global_wb scope:SCOPE_SE
	s_wait_dscnt 0x0
	s_barrier_signal -1
	s_barrier_wait -1
	global_inv scope:SCOPE_SE
	s_clause 0x1
	global_load_b128 v[20:23], v41, s[2:3] offset:384
	global_load_b128 v[12:15], v41, s[2:3] offset:400
	v_add_nc_u32_e32 v32, 0x400, v81
	v_add_nc_u32_e32 v44, 0x800, v81
	v_mul_i32_i24_e32 v43, 0xffffffe8, v83
	ds_load_2addr_b64 v[33:36], v81 offset0:112 offset1:168
	ds_load_2addr_b64 v[37:40], v32 offset0:96 offset1:152
	ds_load_2addr_b64 v[45:48], v81 offset1:56
	ds_load_2addr_b64 v[71:74], v44 offset0:80 offset1:136
	v_mul_hi_i32_i24_e32 v42, 0xffffffe8, v83
	ds_load_2addr_b64 v[75:78], v44 offset0:192 offset1:248
	global_wb scope:SCOPE_SE
	s_wait_loadcnt_dscnt 0x0
	s_barrier_signal -1
	s_barrier_wait -1
	global_inv scope:SCOPE_SE
	v_mul_f32_e32 v51, v37, v23
	v_dual_mul_f32 v89, v76, v15 :: v_dual_mul_f32 v80, v71, v13
	v_add_co_u32 v41, s1, s2, v41
	s_wait_alu 0xf1ff
	v_add_co_ci_u32_e64 v49, null, s3, 0, s1
	v_dual_mul_f32 v79, v72, v13 :: v_dual_mul_f32 v94, v39, v23
	s_delay_alu instid0(VALU_DEP_3) | instskip(SKIP_1) | instid1(VALU_DEP_3)
	v_add_co_u32 v41, s1, v41, v43
	s_wait_alu 0xf1ff
	v_add_co_ci_u32_e64 v42, s1, v49, v42, s1
	v_dual_mul_f32 v43, v34, v21 :: v_dual_mul_f32 v90, v75, v15
	v_dual_mul_f32 v49, v33, v21 :: v_dual_mul_f32 v50, v38, v23
	;; [unrolled: 1-line block ×4, first 2 shown]
	v_dual_mul_f32 v95, v74, v13 :: v_dual_fmac_f32 v80, v72, v12
	v_dual_mul_f32 v96, v73, v13 :: v_dual_mul_f32 v97, v78, v15
	v_fma_f32 v33, v33, v20, -v43
	v_dual_fmac_f32 v49, v34, v20 :: v_dual_fmac_f32 v90, v76, v14
	v_fma_f32 v34, v37, v22, -v50
	v_dual_fmac_f32 v51, v38, v22 :: v_dual_fmac_f32 v92, v36, v20
	v_fma_f32 v43, v71, v12, -v79
	v_fma_f32 v75, v75, v14, -v89
	;; [unrolled: 1-line block ×4, first 2 shown]
	v_fmac_f32_e32 v94, v40, v22
	v_fma_f32 v50, v73, v12, -v95
	v_dual_fmac_f32 v96, v74, v12 :: v_dual_sub_f32 v39, v33, v34
	v_fma_f32 v76, v77, v14, -v97
	v_dual_fmac_f32 v98, v78, v14 :: v_dual_add_f32 v71, v33, v75
	v_dual_add_f32 v36, v45, v33 :: v_dual_sub_f32 v73, v43, v75
	v_dual_add_f32 v38, v34, v43 :: v_dual_add_f32 v79, v51, v80
	v_dual_sub_f32 v40, v75, v43 :: v_dual_sub_f32 v95, v90, v80
	v_dual_add_f32 v78, v46, v49 :: v_dual_sub_f32 v93, v49, v51
	v_dual_add_f32 v97, v49, v90 :: v_dual_add_f32 v100, v47, v35
	v_dual_sub_f32 v74, v49, v90 :: v_dual_sub_f32 v91, v34, v43
	v_dual_sub_f32 v77, v51, v80 :: v_dual_sub_f32 v72, v34, v33
	v_sub_f32_e32 v89, v33, v75
	v_dual_sub_f32 v49, v51, v49 :: v_dual_sub_f32 v102, v92, v98
	v_dual_sub_f32 v99, v80, v90 :: v_dual_sub_f32 v104, v35, v37
	v_dual_add_f32 v101, v37, v50 :: v_dual_add_f32 v106, v35, v76
	v_dual_sub_f32 v105, v76, v50 :: v_dual_sub_f32 v108, v50, v76
	v_dual_sub_f32 v107, v37, v35 :: v_dual_add_f32 v110, v94, v96
	v_add_f32_e32 v109, v48, v92
	v_add_f32_e32 v115, v92, v98
	v_dual_add_f32 v117, v36, v34 :: v_dual_add_f32 v118, v39, v40
	v_fma_f32 v33, -0.5, v38, v45
	v_add_f32_e32 v40, v78, v51
	v_fma_f32 v34, -0.5, v79, v46
	v_dual_sub_f32 v111, v35, v76 :: v_dual_sub_f32 v116, v96, v98
	v_fma_f32 v35, -0.5, v71, v45
	v_fma_f32 v36, -0.5, v97, v46
	v_dual_sub_f32 v103, v94, v96 :: v_dual_sub_f32 v112, v37, v50
	v_dual_sub_f32 v113, v92, v94 :: v_dual_sub_f32 v114, v98, v96
	v_dual_sub_f32 v92, v94, v92 :: v_dual_add_f32 v119, v72, v73
	v_add_f32_e32 v78, v49, v99
	v_add_f32_e32 v51, v93, v95
	v_dual_add_f32 v49, v100, v37 :: v_dual_add_f32 v72, v109, v94
	v_fma_f32 v37, -0.5, v101, v47
	v_fma_f32 v47, -0.5, v106, v47
	v_add_f32_e32 v93, v107, v108
	v_fma_f32 v38, -0.5, v110, v48
	v_fmac_f32_e32 v48, -0.5, v115
	v_dual_add_f32 v43, v117, v43 :: v_dual_add_f32 v80, v40, v80
	v_fmamk_f32 v39, v74, 0x3f737871, v33
	v_dual_fmac_f32 v33, 0xbf737871, v74 :: v_dual_fmamk_f32 v40, v89, 0xbf737871, v34
	v_fmamk_f32 v45, v77, 0xbf737871, v35
	v_dual_fmac_f32 v35, 0x3f737871, v77 :: v_dual_fmamk_f32 v46, v91, 0x3f737871, v36
	v_fmac_f32_e32 v36, 0xbf737871, v91
	v_dual_fmac_f32 v34, 0x3f737871, v89 :: v_dual_add_f32 v95, v49, v50
	v_dual_add_f32 v96, v72, v96 :: v_dual_fmamk_f32 v49, v102, 0x3f737871, v37
	v_dual_fmac_f32 v37, 0xbf737871, v102 :: v_dual_fmamk_f32 v50, v111, 0xbf737871, v38
	v_fmamk_f32 v71, v103, 0xbf737871, v47
	v_dual_fmac_f32 v47, 0x3f737871, v103 :: v_dual_fmamk_f32 v72, v112, 0x3f737871, v48
	v_fmac_f32_e32 v38, 0x3f737871, v111
	v_fmac_f32_e32 v48, 0xbf737871, v112
	v_dual_fmac_f32 v39, 0x3f167918, v77 :: v_dual_fmac_f32 v34, 0x3f167918, v91
	v_dual_fmac_f32 v33, 0xbf167918, v77 :: v_dual_fmac_f32 v40, 0xbf167918, v91
	;; [unrolled: 1-line block ×4, first 2 shown]
	v_dual_add_f32 v79, v104, v105 :: v_dual_add_f32 v94, v113, v114
	v_dual_add_f32 v92, v92, v116 :: v_dual_fmac_f32 v49, 0x3f167918, v103
	v_fmac_f32_e32 v38, 0x3f167918, v112
	v_dual_fmac_f32 v37, 0xbf167918, v103 :: v_dual_fmac_f32 v50, 0xbf167918, v112
	v_dual_fmac_f32 v71, 0x3f167918, v102 :: v_dual_fmac_f32 v48, 0x3f167918, v111
	;; [unrolled: 1-line block ×3, first 2 shown]
	v_dual_add_f32 v73, v43, v75 :: v_dual_add_f32 v74, v80, v90
	v_dual_fmac_f32 v39, 0x3e9e377a, v118 :: v_dual_fmac_f32 v40, 0x3e9e377a, v51
	v_dual_fmac_f32 v45, 0x3e9e377a, v119 :: v_dual_fmac_f32 v46, 0x3e9e377a, v78
	;; [unrolled: 1-line block ×3, first 2 shown]
	v_dual_add_f32 v75, v95, v76 :: v_dual_add_f32 v76, v96, v98
	v_dual_fmac_f32 v33, 0x3e9e377a, v118 :: v_dual_fmac_f32 v34, 0x3e9e377a, v51
	v_dual_fmac_f32 v49, 0x3e9e377a, v79 :: v_dual_fmac_f32 v50, 0x3e9e377a, v94
	;; [unrolled: 1-line block ×5, first 2 shown]
	ds_store_2addr_b64 v81, v[73:74], v[39:40] offset1:56
	ds_store_2addr_b64 v81, v[45:46], v[35:36] offset0:112 offset1:168
	ds_store_2addr_b64 v32, v[33:34], v[75:76] offset0:96 offset1:152
	;; [unrolled: 1-line block ×4, first 2 shown]
	global_wb scope:SCOPE_SE
	s_wait_dscnt 0x0
	s_barrier_signal -1
	s_barrier_wait -1
	global_inv scope:SCOPE_SE
	s_clause 0x4
	global_load_b64 v[75:76], v[41:42], off offset:2176
	global_load_b64 v[79:80], v[41:42], off offset:2624
	;; [unrolled: 1-line block ×5, first 2 shown]
	ds_load_2addr_b64 v[33:36], v32 offset0:96 offset1:152
	ds_load_2addr_b64 v[37:40], v44 offset0:80 offset1:136
	;; [unrolled: 1-line block ×3, first 2 shown]
	ds_load_2addr_b64 v[89:92], v81 offset1:56
	ds_load_2addr_b64 v[93:96], v81 offset0:112 offset1:168
	s_add_nc_u64 s[2:3], s[12:13], 0x1180
	s_wait_loadcnt_dscnt 0x404
	v_mul_f32_e32 v42, v35, v76
	v_mul_f32_e32 v41, v36, v76
	s_wait_loadcnt_dscnt 0x303
	v_mul_f32_e32 v43, v38, v80
	s_wait_loadcnt_dscnt 0x102
	v_mul_f32_e32 v97, v46, v74
	s_wait_loadcnt 0x0
	v_dual_mul_f32 v100, v47, v78 :: v_dual_mul_f32 v49, v37, v80
	v_fmac_f32_e32 v42, v36, v75
	v_mul_f32_e32 v50, v40, v72
	v_dual_mul_f32 v98, v45, v74 :: v_dual_mul_f32 v51, v39, v72
	v_fma_f32 v35, v35, v75, -v41
	v_mul_f32_e32 v99, v48, v78
	v_fma_f32 v36, v37, v79, -v43
	v_fmac_f32_e32 v49, v38, v79
	v_fma_f32 v37, v39, v71, -v50
	v_fma_f32 v38, v45, v73, -v97
	v_dual_fmac_f32 v98, v46, v73 :: v_dual_fmac_f32 v51, v40, v71
	s_wait_dscnt 0x1
	v_dual_fmac_f32 v100, v48, v77 :: v_dual_sub_f32 v41, v90, v42
	v_sub_f32_e32 v40, v89, v35
	v_fma_f32 v39, v47, v77, -v99
	v_dual_sub_f32 v42, v91, v36 :: v_dual_sub_f32 v43, v92, v49
	s_wait_dscnt 0x0
	v_dual_sub_f32 v46, v94, v51 :: v_dual_sub_f32 v45, v93, v37
	v_sub_f32_e32 v48, v96, v98
	v_dual_sub_f32 v47, v95, v38 :: v_dual_sub_f32 v38, v33, v39
	v_sub_f32_e32 v39, v34, v100
	v_fma_f32 v49, v89, 2.0, -v40
	v_fma_f32 v50, v90, 2.0, -v41
	;; [unrolled: 1-line block ×10, first 2 shown]
	ds_store_b64 v81, v[40:41] offset:2240
	ds_store_2addr_b64 v44, v[42:43], v[45:46] offset0:80 offset1:136
	ds_store_2addr_b64 v44, v[47:48], v[38:39] offset0:192 offset1:248
	ds_store_2addr_b64 v81, v[49:50], v[89:90] offset1:56
	ds_store_2addr_b64 v81, v[91:92], v[93:94] offset0:112 offset1:168
	ds_store_b64 v81, v[36:37] offset:1792
	global_wb scope:SCOPE_SE
	s_wait_dscnt 0x0
	s_barrier_signal -1
	s_barrier_wait -1
	global_inv scope:SCOPE_SE
	s_clause 0x7
	global_load_b64 v[33:34], v[52:53], off offset:4480
	global_load_b64 v[45:46], v81, s[2:3] offset:560
	global_load_b64 v[49:50], v81, s[2:3] offset:1120
	;; [unrolled: 1-line block ×7, first 2 shown]
	ds_load_2addr_b64 v[40:43], v81 offset1:70
	s_wait_loadcnt_dscnt 0x700
	v_mul_f32_e32 v48, v41, v34
	v_mul_f32_e32 v35, v40, v34
	s_wait_loadcnt 0x6
	v_mul_f32_e32 v51, v43, v46
	v_mul_f32_e32 v47, v42, v46
	v_fma_f32 v34, v40, v33, -v48
	v_fmac_f32_e32 v35, v41, v33
	s_delay_alu instid0(VALU_DEP_4) | instskip(NEXT) | instid1(VALU_DEP_4)
	v_fma_f32 v46, v42, v45, -v51
	v_fmac_f32_e32 v47, v43, v45
	ds_store_2addr_b64 v81, v[34:35], v[46:47] offset1:70
	ds_load_2addr_b64 v[40:43], v81 offset0:140 offset1:210
	ds_load_2addr_b64 v[45:48], v44 offset0:24 offset1:94
	;; [unrolled: 1-line block ×3, first 2 shown]
	s_wait_loadcnt_dscnt 0x502
	v_mul_f32_e32 v33, v41, v50
	v_mul_f32_e32 v34, v40, v50
	s_wait_loadcnt 0x4
	v_mul_f32_e32 v35, v43, v94
	v_mul_f32_e32 v50, v42, v94
	s_wait_loadcnt_dscnt 0x301
	v_mul_f32_e32 v51, v46, v96
	v_mul_f32_e32 v94, v45, v96
	s_wait_loadcnt 0x2
	v_mul_f32_e32 v96, v47, v98
	s_wait_loadcnt_dscnt 0x100
	v_dual_mul_f32 v103, v48, v98 :: v_dual_mul_f32 v104, v90, v100
	v_mul_f32_e32 v98, v89, v100
	s_wait_loadcnt 0x0
	v_dual_fmac_f32 v94, v46, v95 :: v_dual_mul_f32 v105, v92, v102
	v_mul_f32_e32 v100, v91, v102
	v_fmac_f32_e32 v34, v41, v49
	v_fmac_f32_e32 v98, v90, v99
	;; [unrolled: 1-line block ×3, first 2 shown]
	v_fma_f32 v33, v40, v49, -v33
	v_fma_f32 v49, v42, v93, -v35
	;; [unrolled: 1-line block ×4, first 2 shown]
	v_fmac_f32_e32 v96, v48, v97
	v_fma_f32 v97, v89, v99, -v104
	v_fma_f32 v99, v91, v101, -v105
	v_fmac_f32_e32 v100, v92, v101
	ds_store_2addr_b64 v81, v[33:34], v[49:50] offset0:140 offset1:210
	ds_store_2addr_b64 v44, v[93:94], v[95:96] offset0:24 offset1:94
	;; [unrolled: 1-line block ×3, first 2 shown]
	s_and_saveexec_b32 s1, vcc_lo
	s_cbranch_execz .LBB0_13
; %bb.12:
	s_wait_alu 0xfffe
	v_add_co_u32 v33, s2, s2, v81
	s_wait_alu 0xf1ff
	v_add_co_ci_u32_e64 v34, null, s3, 0, s2
	s_clause 0x7
	global_load_b64 v[45:46], v[33:34], off offset:448
	global_load_b64 v[47:48], v[33:34], off offset:1008
	;; [unrolled: 1-line block ×8, first 2 shown]
	ds_load_2addr_b64 v[40:43], v81 offset0:56 offset1:126
	s_wait_loadcnt_dscnt 0x700
	v_mul_f32_e32 v35, v41, v46
	s_wait_loadcnt 0x6
	v_dual_mul_f32 v90, v40, v46 :: v_dual_mul_f32 v51, v43, v48
	v_mul_f32_e32 v46, v42, v48
	s_delay_alu instid0(VALU_DEP_3) | instskip(NEXT) | instid1(VALU_DEP_3)
	v_fma_f32 v89, v40, v45, -v35
	v_fmac_f32_e32 v90, v41, v45
	s_delay_alu instid0(VALU_DEP_4) | instskip(NEXT) | instid1(VALU_DEP_4)
	v_fma_f32 v45, v42, v47, -v51
	v_dual_fmac_f32 v46, v43, v47 :: v_dual_add_nc_u32 v51, 0xc00, v81
	ds_store_2addr_b64 v81, v[89:90], v[45:46] offset0:56 offset1:126
	ds_load_2addr_b64 v[40:43], v32 offset0:68 offset1:138
	ds_load_2addr_b64 v[45:48], v44 offset0:80 offset1:150
	ds_load_2addr_b64 v[89:92], v51 offset0:92 offset1:162
	s_wait_loadcnt_dscnt 0x100
	v_dual_mul_f32 v104, v48, v98 :: v_dual_mul_f32 v105, v90, v100
	v_mul_f32_e32 v101, v41, v50
	v_mul_f32_e32 v35, v40, v50
	v_dual_mul_f32 v102, v43, v94 :: v_dual_mul_f32 v103, v46, v96
	v_mul_f32_e32 v50, v42, v94
	v_mul_f32_e32 v94, v45, v96
	s_delay_alu instid0(VALU_DEP_4)
	v_dual_fmac_f32 v35, v41, v49 :: v_dual_mul_f32 v96, v47, v98
	v_mul_f32_e32 v98, v89, v100
	s_wait_loadcnt 0x0
	v_mul_f32_e32 v106, v92, v34
	v_mul_f32_e32 v100, v91, v34
	v_fmac_f32_e32 v50, v43, v93
	v_fma_f32 v34, v40, v49, -v101
	v_fma_f32 v49, v42, v93, -v102
	;; [unrolled: 1-line block ×3, first 2 shown]
	v_fmac_f32_e32 v94, v46, v95
	v_fma_f32 v95, v47, v97, -v104
	v_fmac_f32_e32 v96, v48, v97
	v_fma_f32 v97, v89, v99, -v105
	;; [unrolled: 2-line block ×3, first 2 shown]
	v_fmac_f32_e32 v100, v92, v33
	ds_store_2addr_b64 v32, v[34:35], v[49:50] offset0:68 offset1:138
	ds_store_2addr_b64 v44, v[93:94], v[95:96] offset0:80 offset1:150
	;; [unrolled: 1-line block ×3, first 2 shown]
.LBB0_13:
	s_wait_alu 0xfffe
	s_or_b32 exec_lo, exec_lo, s1
	global_wb scope:SCOPE_SE
	s_wait_dscnt 0x0
	s_barrier_signal -1
	s_barrier_wait -1
	global_inv scope:SCOPE_SE
	ds_load_2addr_b64 v[40:43], v81 offset1:70
	ds_load_2addr_b64 v[32:35], v81 offset0:140 offset1:210
	ds_load_2addr_b64 v[48:51], v44 offset0:24 offset1:94
	;; [unrolled: 1-line block ×3, first 2 shown]
	s_and_saveexec_b32 s1, vcc_lo
	s_cbranch_execz .LBB0_15
; %bb.14:
	v_add_nc_u32_e32 v16, 0x400, v81
	v_add_nc_u32_e32 v17, 0x800, v81
	;; [unrolled: 1-line block ×3, first 2 shown]
	ds_load_2addr_b64 v[36:39], v81 offset0:56 offset1:126
	ds_load_2addr_b64 v[24:27], v16 offset0:68 offset1:138
	ds_load_2addr_b64 v[28:31], v17 offset0:80 offset1:150
	ds_load_2addr_b64 v[16:19], v18 offset0:92 offset1:162
.LBB0_15:
	s_wait_alu 0xfffe
	s_or_b32 exec_lo, exec_lo, s1
	s_wait_dscnt 0x1
	v_dual_sub_f32 v48, v40, v48 :: v_dual_sub_f32 v49, v41, v49
	s_wait_dscnt 0x0
	v_dual_sub_f32 v44, v32, v44 :: v_dual_sub_f32 v45, v33, v45
	v_dual_sub_f32 v50, v42, v50 :: v_dual_sub_f32 v51, v43, v51
	s_delay_alu instid0(VALU_DEP_3) | instskip(SKIP_1) | instid1(VALU_DEP_4)
	v_fma_f32 v40, v40, 2.0, -v48
	v_fma_f32 v41, v41, 2.0, -v49
	;; [unrolled: 1-line block ×4, first 2 shown]
	v_dual_sub_f32 v46, v34, v46 :: v_dual_sub_f32 v47, v35, v47
	v_fma_f32 v42, v42, 2.0, -v50
	v_fma_f32 v43, v43, 2.0, -v51
	s_delay_alu instid0(VALU_DEP_4) | instskip(NEXT) | instid1(VALU_DEP_4)
	v_dual_sub_f32 v89, v40, v32 :: v_dual_sub_f32 v90, v41, v33
	v_fma_f32 v32, v34, 2.0, -v46
	v_fma_f32 v33, v35, 2.0, -v47
	v_dual_add_f32 v91, v48, v45 :: v_dual_sub_f32 v92, v49, v44
	v_dual_add_f32 v93, v50, v47 :: v_dual_sub_f32 v94, v51, v46
	v_fma_f32 v34, v40, 2.0, -v89
	s_delay_alu instid0(VALU_DEP_3) | instskip(NEXT) | instid1(VALU_DEP_4)
	v_fma_f32 v47, v48, 2.0, -v91
	v_fma_f32 v49, v49, 2.0, -v92
	;; [unrolled: 1-line block ×4, first 2 shown]
	v_sub_f32_e32 v48, v42, v32
	v_sub_f32_e32 v32, v43, v33
	v_fma_f32 v33, v50, 2.0, -v93
	v_dual_sub_f32 v29, v37, v29 :: v_dual_sub_f32 v16, v24, v16
	v_sub_f32_e32 v19, v27, v19
	s_delay_alu instid0(VALU_DEP_4)
	v_fma_f32 v41, v43, 2.0, -v32
	v_fmamk_f32 v43, v44, 0xbf3504f3, v49
	v_fma_f32 v40, v42, 2.0, -v48
	v_fmamk_f32 v42, v33, 0xbf3504f3, v47
	v_sub_f32_e32 v17, v25, v17
	v_sub_f32_e32 v41, v35, v41
	s_delay_alu instid0(VALU_DEP_4) | instskip(NEXT) | instid1(VALU_DEP_4)
	v_dual_fmac_f32 v43, 0xbf3504f3, v33 :: v_dual_sub_f32 v40, v34, v40
	v_fmac_f32_e32 v42, 0x3f3504f3, v44
	v_sub_f32_e32 v33, v90, v48
	s_delay_alu instid0(VALU_DEP_4) | instskip(SKIP_3) | instid1(VALU_DEP_3)
	v_fma_f32 v45, v35, 2.0, -v41
	v_dual_add_f32 v32, v89, v32 :: v_dual_fmamk_f32 v35, v94, 0x3f3504f3, v92
	v_fma_f32 v44, v34, 2.0, -v40
	v_dual_fmamk_f32 v34, v93, 0x3f3504f3, v91 :: v_dual_sub_f32 v31, v39, v31
	v_dual_sub_f32 v28, v36, v28 :: v_dual_fmac_f32 v35, 0xbf3504f3, v93
	v_fma_f32 v37, v37, 2.0, -v29
	s_delay_alu instid0(VALU_DEP_3) | instskip(SKIP_1) | instid1(VALU_DEP_4)
	v_fmac_f32_e32 v34, 0x3f3504f3, v94
	v_fma_f32 v24, v24, 2.0, -v16
	v_fma_f32 v36, v36, 2.0, -v28
	v_sub_f32_e32 v30, v38, v30
	v_fma_f32 v25, v25, 2.0, -v17
	v_fma_f32 v46, v47, 2.0, -v42
	;; [unrolled: 1-line block ×4, first 2 shown]
	v_sub_f32_e32 v89, v36, v24
	v_fma_f32 v49, v90, 2.0, -v33
	v_dual_sub_f32 v18, v26, v18 :: v_dual_add_f32 v93, v17, v28
	v_fma_f32 v39, v39, 2.0, -v31
	v_dual_sub_f32 v90, v37, v25 :: v_dual_add_f32 v95, v19, v30
	v_fma_f32 v17, v27, 2.0, -v19
	v_fma_f32 v38, v38, 2.0, -v30
	;; [unrolled: 1-line block ×5, first 2 shown]
	v_sub_f32_e32 v36, v39, v17
	v_fma_f32 v26, v37, 2.0, -v90
	v_sub_f32_e32 v96, v31, v18
	v_fma_f32 v27, v28, 2.0, -v93
	v_fma_f32 v50, v91, 2.0, -v34
	;; [unrolled: 1-line block ×3, first 2 shown]
	v_sub_f32_e32 v94, v29, v16
	v_fma_f32 v31, v31, 2.0, -v96
	v_fmamk_f32 v18, v30, 0xbf3504f3, v27
	v_fma_f32 v51, v92, 2.0, -v35
	v_sub_f32_e32 v17, v26, v17
	v_fma_f32 v29, v29, 2.0, -v94
	v_sub_f32_e32 v28, v38, v24
	v_fmac_f32_e32 v18, 0x3f3504f3, v31
	global_wb scope:SCOPE_SE
	s_barrier_signal -1
	v_fmamk_f32 v19, v31, 0xbf3504f3, v29
	v_fma_f32 v16, v38, 2.0, -v28
	v_dual_fmamk_f32 v38, v95, 0x3f3504f3, v93 :: v_dual_sub_f32 v37, v90, v28
	v_fmamk_f32 v39, v96, 0x3f3504f3, v94
	s_delay_alu instid0(VALU_DEP_3) | instskip(SKIP_1) | instid1(VALU_DEP_4)
	v_dual_fmac_f32 v19, 0xbf3504f3, v30 :: v_dual_sub_f32 v16, v25, v16
	v_add_f32_e32 v36, v36, v89
	v_fmac_f32_e32 v38, 0x3f3504f3, v96
	s_delay_alu instid0(VALU_DEP_4)
	v_fmac_f32_e32 v39, 0xbf3504f3, v95
	s_barrier_wait -1
	v_fma_f32 v24, v25, 2.0, -v16
	v_fma_f32 v25, v26, 2.0, -v17
	;; [unrolled: 1-line block ×8, first 2 shown]
	global_inv scope:SCOPE_SE
	ds_store_b128 v87, v[44:47]
	ds_store_b128 v87, v[48:51] offset:16
	ds_store_b128 v87, v[40:43] offset:32
	;; [unrolled: 1-line block ×3, first 2 shown]
	s_and_saveexec_b32 s1, vcc_lo
	s_cbranch_execz .LBB0_17
; %bb.16:
	ds_store_b128 v86, v[24:27]
	ds_store_b128 v86, v[28:31] offset:16
	ds_store_b128 v86, v[16:19] offset:32
	;; [unrolled: 1-line block ×3, first 2 shown]
.LBB0_17:
	s_wait_alu 0xfffe
	s_or_b32 exec_lo, exec_lo, s1
	v_add_nc_u32_e32 v48, 0x800, v81
	global_wb scope:SCOPE_SE
	s_wait_dscnt 0x0
	s_barrier_signal -1
	s_barrier_wait -1
	global_inv scope:SCOPE_SE
	ds_load_2addr_b64 v[36:39], v81 offset1:80
	ds_load_2addr_b64 v[44:47], v81 offset0:160 offset1:240
	ds_load_2addr_b64 v[40:43], v48 offset0:64 offset1:144
	ds_load_b64 v[32:33], v81 offset:3840
	s_and_saveexec_b32 s1, s0
	s_cbranch_execz .LBB0_19
; %bb.18:
	ds_load_2addr_b64 v[24:27], v48 offset0:120 offset1:200
	s_wait_dscnt 0x0
	v_dual_mov_b32 v17, v27 :: v_dual_add_nc_u32 v16, 0x400, v81
	ds_load_2addr_b64 v[48:51], v81 offset0:56 offset1:136
	ds_load_2addr_b64 v[89:92], v16 offset0:88 offset1:168
	ds_load_b64 v[18:19], v81 offset:4288
	v_dual_mov_b32 v16, v26 :: v_dual_mov_b32 v31, v25
	s_wait_dscnt 0x2
	v_dual_mov_b32 v30, v24 :: v_dual_mov_b32 v25, v51
	s_wait_dscnt 0x1
	v_dual_mov_b32 v24, v50 :: v_dual_mov_b32 v29, v92
	v_dual_mov_b32 v34, v48 :: v_dual_mov_b32 v27, v90
	;; [unrolled: 1-line block ×3, first 2 shown]
	v_mov_b32_e32 v26, v89
.LBB0_19:
	s_wait_alu 0xfffe
	s_or_b32 exec_lo, exec_lo, s1
	s_wait_dscnt 0x2
	v_dual_mul_f32 v48, v5, v39 :: v_dual_mul_f32 v51, v7, v44
	v_dual_mul_f32 v49, v5, v38 :: v_dual_mul_f32 v50, v7, v45
	global_wb scope:SCOPE_SE
	s_wait_dscnt 0x0
	v_fmac_f32_e32 v48, v4, v38
	v_mul_f32_e32 v86, v3, v41
	v_fma_f32 v38, v4, v39, -v49
	v_mul_f32_e32 v39, v1, v47
	v_dual_mul_f32 v49, v1, v46 :: v_dual_fmac_f32 v50, v6, v44
	v_fma_f32 v44, v6, v45, -v51
	s_delay_alu instid0(VALU_DEP_3) | instskip(NEXT) | instid1(VALU_DEP_3)
	v_dual_fmac_f32 v86, v2, v40 :: v_dual_fmac_f32 v39, v0, v46
	v_fma_f32 v45, v0, v47, -v49
	v_dual_mul_f32 v49, v9, v43 :: v_dual_mul_f32 v46, v11, v33
	v_dual_mul_f32 v51, v9, v42 :: v_dual_mul_f32 v40, v3, v40
	s_barrier_signal -1
	s_delay_alu instid0(VALU_DEP_2)
	v_fmac_f32_e32 v49, v8, v42
	v_mul_f32_e32 v47, v11, v32
	v_fmac_f32_e32 v46, v10, v32
	s_barrier_wait -1
	global_inv scope:SCOPE_SE
	v_fma_f32 v32, v10, v33, -v47
	v_fma_f32 v33, v2, v41, -v40
	;; [unrolled: 1-line block ×3, first 2 shown]
	v_add_f32_e32 v41, v48, v46
	s_delay_alu instid0(VALU_DEP_4)
	v_dual_sub_f32 v43, v48, v46 :: v_dual_add_f32 v42, v38, v32
	v_sub_f32_e32 v32, v38, v32
	v_add_f32_e32 v38, v50, v49
	v_dual_add_f32 v46, v44, v40 :: v_dual_sub_f32 v47, v50, v49
	v_sub_f32_e32 v40, v44, v40
	v_add_f32_e32 v44, v39, v86
	s_delay_alu instid0(VALU_DEP_3) | instskip(SKIP_4) | instid1(VALU_DEP_4)
	v_dual_add_f32 v48, v45, v33 :: v_dual_add_f32 v49, v46, v42
	v_sub_f32_e32 v39, v86, v39
	v_sub_f32_e32 v33, v33, v45
	v_add_f32_e32 v45, v38, v41
	v_dual_sub_f32 v50, v38, v41 :: v_dual_sub_f32 v41, v41, v44
	v_dual_sub_f32 v51, v46, v42 :: v_dual_add_f32 v86, v39, v47
	v_dual_sub_f32 v42, v42, v48 :: v_dual_sub_f32 v89, v39, v47
	v_dual_sub_f32 v38, v44, v38 :: v_dual_add_f32 v87, v33, v40
	v_dual_sub_f32 v47, v47, v43 :: v_dual_add_f32 v44, v44, v45
	v_add_f32_e32 v45, v48, v49
	v_dual_sub_f32 v46, v48, v46 :: v_dual_sub_f32 v39, v43, v39
	v_dual_sub_f32 v90, v33, v40 :: v_dual_sub_f32 v91, v32, v33
	v_dual_sub_f32 v40, v40, v32 :: v_dual_add_f32 v43, v86, v43
	v_add_f32_e32 v48, v87, v32
	v_dual_add_f32 v32, v36, v44 :: v_dual_add_f32 v33, v37, v45
	v_dual_mul_f32 v36, 0x3f4a47b2, v41 :: v_dual_mul_f32 v37, 0x3f4a47b2, v42
	v_mul_f32_e32 v41, 0x3d64c772, v38
	v_dual_mul_f32 v49, 0x3f08b237, v89 :: v_dual_mul_f32 v86, 0x3f08b237, v90
	s_delay_alu instid0(VALU_DEP_4) | instskip(NEXT) | instid1(VALU_DEP_4)
	v_dual_fmamk_f32 v44, v44, 0xbf955555, v32 :: v_dual_fmamk_f32 v45, v45, 0xbf955555, v33
	v_fmamk_f32 v38, v38, 0x3d64c772, v36
	v_mul_f32_e32 v42, 0x3d64c772, v46
	v_fmamk_f32 v46, v46, 0x3d64c772, v37
	v_mul_f32_e32 v87, 0xbf5ff5aa, v47
	v_fma_f32 v41, 0x3f3bfb3b, v50, -v41
	v_fma_f32 v36, 0xbf3bfb3b, v50, -v36
	;; [unrolled: 1-line block ×3, first 2 shown]
	v_add_f32_e32 v90, v46, v45
	v_fmamk_f32 v50, v39, 0xbeae86e6, v49
	v_fma_f32 v47, 0xbf5ff5aa, v47, -v49
	v_fma_f32 v49, 0xbf5ff5aa, v40, -v86
	;; [unrolled: 1-line block ×3, first 2 shown]
	v_dual_fmamk_f32 v51, v91, 0xbeae86e6, v86 :: v_dual_add_f32 v46, v41, v44
	v_fma_f32 v86, 0x3eae86e6, v39, -v87
	s_delay_alu instid0(VALU_DEP_4) | instskip(SKIP_1) | instid1(VALU_DEP_4)
	v_fmac_f32_e32 v49, 0xbee1c552, v48
	v_mul_f32_e32 v89, 0xbf5ff5aa, v40
	v_fmac_f32_e32 v51, 0xbee1c552, v48
	v_fmac_f32_e32 v47, 0xbee1c552, v43
	;; [unrolled: 1-line block ×3, first 2 shown]
	v_sub_f32_e32 v40, v46, v49
	v_fma_f32 v87, 0x3eae86e6, v91, -v89
	v_add_f32_e32 v89, v38, v44
	v_dual_add_f32 v91, v42, v45 :: v_dual_fmac_f32 v50, 0xbee1c552, v43
	v_dual_add_f32 v44, v36, v44 :: v_dual_add_f32 v45, v37, v45
	s_delay_alu instid0(VALU_DEP_3) | instskip(NEXT) | instid1(VALU_DEP_3)
	v_dual_fmac_f32 v87, 0xbee1c552, v48 :: v_dual_add_f32 v36, v51, v89
	v_sub_f32_e32 v37, v90, v50
	s_delay_alu instid0(VALU_DEP_4) | instskip(NEXT) | instid1(VALU_DEP_3)
	v_dual_add_f32 v41, v47, v91 :: v_dual_add_f32 v42, v49, v46
	v_dual_add_f32 v38, v87, v44 :: v_dual_sub_f32 v39, v45, v86
	v_sub_f32_e32 v44, v44, v87
	v_sub_f32_e32 v43, v91, v47
	v_dual_add_f32 v45, v86, v45 :: v_dual_sub_f32 v46, v89, v51
	v_add_f32_e32 v47, v50, v90
	ds_store_2addr_b64 v88, v[32:33], v[36:37] offset1:8
	ds_store_2addr_b64 v88, v[38:39], v[40:41] offset0:16 offset1:24
	ds_store_2addr_b64 v88, v[42:43], v[44:45] offset0:32 offset1:40
	ds_store_b64 v88, v[46:47] offset:384
	s_and_saveexec_b32 s1, s0
	s_cbranch_execz .LBB0_21
; %bb.20:
	v_dual_mul_f32 v32, v3, v31 :: v_dual_mul_f32 v33, v1, v29
	v_dual_mul_f32 v36, v5, v25 :: v_dual_mul_f32 v37, v11, v19
	v_mul_f32_e32 v38, v7, v27
	s_delay_alu instid0(VALU_DEP_3) | instskip(NEXT) | instid1(VALU_DEP_3)
	v_dual_fmac_f32 v32, v2, v30 :: v_dual_fmac_f32 v33, v0, v28
	v_dual_mul_f32 v11, v11, v18 :: v_dual_fmac_f32 v36, v4, v24
	s_delay_alu instid0(VALU_DEP_4) | instskip(NEXT) | instid1(VALU_DEP_3)
	v_fmac_f32_e32 v37, v10, v18
	v_dual_mul_f32 v5, v5, v24 :: v_dual_sub_f32 v18, v32, v33
	v_dual_mul_f32 v24, v9, v17 :: v_dual_mul_f32 v7, v7, v26
	v_dual_fmac_f32 v38, v6, v26 :: v_dual_mul_f32 v9, v9, v16
	v_fma_f32 v10, v10, v19, -v11
	s_delay_alu instid0(VALU_DEP_3)
	v_dual_mul_f32 v3, v3, v30 :: v_dual_fmac_f32 v24, v8, v16
	v_sub_f32_e32 v11, v36, v37
	v_fma_f32 v4, v4, v25, -v5
	v_fma_f32 v5, v8, v17, -v9
	;; [unrolled: 1-line block ×4, first 2 shown]
	v_sub_f32_e32 v19, v11, v18
	v_sub_f32_e32 v9, v38, v24
	v_mul_f32_e32 v1, v1, v28
	v_dual_add_f32 v7, v10, v4 :: v_dual_add_f32 v8, v5, v6
	v_sub_f32_e32 v5, v6, v5
	s_delay_alu instid0(VALU_DEP_4) | instskip(NEXT) | instid1(VALU_DEP_4)
	v_sub_f32_e32 v16, v18, v9
	v_fma_f32 v0, v0, v29, -v1
	v_add_f32_e32 v30, v32, v33
	v_add_f32_e32 v24, v24, v38
	v_sub_f32_e32 v4, v4, v10
	v_mul_f32_e32 v16, 0x3f08b237, v16
	s_delay_alu instid0(VALU_DEP_3) | instskip(NEXT) | instid1(VALU_DEP_2)
	v_sub_f32_e32 v6, v30, v24
	v_dual_fmamk_f32 v26, v19, 0xbeae86e6, v16 :: v_dual_add_f32 v3, v8, v7
	v_add_f32_e32 v18, v18, v9
	s_delay_alu instid0(VALU_DEP_1) | instskip(SKIP_2) | instid1(VALU_DEP_3)
	v_add_f32_e32 v18, v18, v11
	v_add_f32_e32 v1, v2, v0
	v_sub_f32_e32 v2, v2, v0
	v_dual_add_f32 v29, v37, v36 :: v_dual_fmac_f32 v26, 0xbee1c552, v18
	s_delay_alu instid0(VALU_DEP_3) | instskip(SKIP_1) | instid1(VALU_DEP_3)
	v_sub_f32_e32 v17, v7, v1
	v_add_f32_e32 v3, v1, v3
	v_dual_sub_f32 v25, v1, v8 :: v_dual_add_f32 v32, v24, v29
	v_sub_f32_e32 v10, v2, v5
	s_delay_alu instid0(VALU_DEP_4) | instskip(NEXT) | instid1(VALU_DEP_4)
	v_mul_f32_e32 v17, 0x3f4a47b2, v17
	v_add_f32_e32 v1, v35, v3
	s_delay_alu instid0(VALU_DEP_4) | instskip(NEXT) | instid1(VALU_DEP_4)
	v_dual_sub_f32 v31, v29, v30 :: v_dual_add_f32 v30, v30, v32
	v_dual_sub_f32 v9, v9, v11 :: v_dual_mul_f32 v10, 0x3f08b237, v10
	s_delay_alu instid0(VALU_DEP_3) | instskip(SKIP_1) | instid1(VALU_DEP_4)
	v_fmamk_f32 v28, v3, 0xbf955555, v1
	v_fmamk_f32 v27, v25, 0x3d64c772, v17
	v_dual_mul_f32 v25, 0x3d64c772, v25 :: v_dual_add_f32 v0, v34, v30
	v_dual_sub_f32 v7, v8, v7 :: v_dual_mul_f32 v32, 0x3d64c772, v6
	s_delay_alu instid0(VALU_DEP_3) | instskip(NEXT) | instid1(VALU_DEP_3)
	v_dual_add_f32 v27, v27, v28 :: v_dual_sub_f32 v24, v24, v29
	v_fmamk_f32 v8, v30, 0xbf955555, v0
	v_mul_f32_e32 v31, 0x3f4a47b2, v31
	v_dual_sub_f32 v11, v4, v2 :: v_dual_add_f32 v2, v2, v5
	v_mul_f32_e32 v33, 0xbf5ff5aa, v9
	v_add_f32_e32 v3, v26, v27
	s_delay_alu instid0(VALU_DEP_4) | instskip(NEXT) | instid1(VALU_DEP_4)
	v_fmamk_f32 v6, v6, 0x3d64c772, v31
	v_fmamk_f32 v30, v11, 0xbeae86e6, v10
	v_fma_f32 v17, 0xbf3bfb3b, v7, -v17
	v_add_f32_e32 v2, v2, v4
	v_fma_f32 v19, 0x3eae86e6, v19, -v33
	v_sub_f32_e32 v33, v5, v4
	v_fma_f32 v29, 0xbf3bfb3b, v24, -v31
	v_add_f32_e32 v17, v17, v28
	v_dual_add_f32 v31, v6, v8 :: v_dual_fmac_f32 v30, 0xbee1c552, v2
	s_delay_alu instid0(VALU_DEP_4) | instskip(SKIP_1) | instid1(VALU_DEP_3)
	v_mul_f32_e32 v4, 0xbf5ff5aa, v33
	v_fma_f32 v9, 0xbf5ff5aa, v9, -v16
	v_add_f32_e32 v16, v30, v31
	s_delay_alu instid0(VALU_DEP_3)
	v_fma_f32 v6, 0x3eae86e6, v11, -v4
	v_fma_f32 v4, 0x3f3bfb3b, v7, -v25
	v_fmac_f32_e32 v19, 0xbee1c552, v18
	v_fma_f32 v25, 0xbf5ff5aa, v33, -v10
	v_fma_f32 v7, 0x3f3bfb3b, v24, -v32
	v_fmac_f32_e32 v6, 0xbee1c552, v2
	s_delay_alu instid0(VALU_DEP_4) | instskip(NEXT) | instid1(VALU_DEP_4)
	v_dual_add_f32 v10, v4, v28 :: v_dual_add_f32 v5, v19, v17
	v_fmac_f32_e32 v25, 0xbee1c552, v2
	v_mul_u32_u24_e32 v2, 56, v85
	v_dual_fmac_f32 v9, 0xbee1c552, v18 :: v_dual_add_f32 v18, v7, v8
	v_add_f32_e32 v29, v29, v8
	v_sub_f32_e32 v11, v17, v19
	s_delay_alu instid0(VALU_DEP_4)
	v_or_b32_e32 v2, v2, v84
	v_sub_f32_e32 v17, v27, v26
	v_sub_f32_e32 v7, v10, v9
	;; [unrolled: 1-line block ×4, first 2 shown]
	v_lshlrev_b32_e32 v19, 3, v2
	v_dual_add_f32 v9, v9, v10 :: v_dual_add_f32 v10, v6, v29
	v_add_f32_e32 v6, v25, v18
	v_sub_f32_e32 v2, v31, v30
	ds_store_2addr_b64 v19, v[0:1], v[16:17] offset1:8
	ds_store_2addr_b64 v19, v[10:11], v[8:9] offset0:16 offset1:24
	ds_store_2addr_b64 v19, v[6:7], v[4:5] offset0:32 offset1:40
	ds_store_b64 v19, v[2:3] offset:384
.LBB0_21:
	s_wait_alu 0xfffe
	s_or_b32 exec_lo, exec_lo, s1
	global_wb scope:SCOPE_SE
	s_wait_dscnt 0x0
	s_barrier_signal -1
	s_barrier_wait -1
	global_inv scope:SCOPE_SE
	ds_load_2addr_b64 v[4:7], v81 offset0:112 offset1:168
	v_add_nc_u32_e32 v3, 0x400, v81
	v_add_nc_u32_e32 v2, 0x800, v81
	s_mov_b32 s2, 0x1d41d41d
	s_mov_b32 s3, 0x3f5d41d4
	s_wait_dscnt 0x0
	v_mul_f32_e32 v33, v21, v7
	v_mul_f32_e32 v0, v21, v4
	ds_load_2addr_b64 v[8:11], v3 offset0:96 offset1:152
	ds_load_2addr_b64 v[16:19], v2 offset0:80 offset1:136
	;; [unrolled: 1-line block ×3, first 2 shown]
	ds_load_2addr_b64 v[28:31], v81 offset1:56
	v_dual_mul_f32 v32, v21, v5 :: v_dual_fmac_f32 v33, v20, v6
	v_mul_f32_e32 v1, v21, v6
	v_fma_f32 v21, v20, v5, -v0
	global_wb scope:SCOPE_SE
	s_wait_dscnt 0x0
	v_fmac_f32_e32 v32, v20, v4
	s_barrier_signal -1
	v_fma_f32 v20, v20, v7, -v1
	s_barrier_wait -1
	global_inv scope:SCOPE_SE
	v_mul_f32_e32 v34, v23, v9
	v_dual_mul_f32 v0, v23, v8 :: v_dual_mul_f32 v35, v13, v17
	v_dual_mul_f32 v4, v13, v16 :: v_dual_mul_f32 v5, v15, v25
	;; [unrolled: 1-line block ×3, first 2 shown]
	v_mul_f32_e32 v36, v15, v24
	v_mul_f32_e32 v1, v23, v10
	v_dual_mul_f32 v23, v13, v19 :: v_dual_fmac_f32 v34, v22, v8
	v_dual_fmac_f32 v35, v12, v16 :: v_dual_mul_f32 v38, v15, v27
	v_fma_f32 v13, v22, v9, -v0
	v_fma_f32 v16, v12, v17, -v4
	v_fmac_f32_e32 v37, v22, v10
	s_delay_alu instid0(VALU_DEP_4) | instskip(SKIP_3) | instid1(VALU_DEP_4)
	v_add_f32_e32 v0, v34, v35
	v_fma_f32 v17, v14, v25, -v36
	v_fma_f32 v22, v22, v11, -v1
	v_dual_add_f32 v1, v28, v32 :: v_dual_fmac_f32 v38, v14, v26
	v_fma_f32 v0, -0.5, v0, v28
	s_delay_alu instid0(VALU_DEP_4) | instskip(SKIP_3) | instid1(VALU_DEP_4)
	v_sub_f32_e32 v7, v21, v17
	v_fmac_f32_e32 v5, v14, v24
	v_fma_f32 v24, v12, v19, -v6
	v_dual_sub_f32 v9, v13, v16 :: v_dual_sub_f32 v6, v32, v34
	v_dual_fmamk_f32 v4, v7, 0xbf737871, v0 :: v_dual_add_f32 v1, v1, v34
	s_delay_alu instid0(VALU_DEP_4) | instskip(SKIP_1) | instid1(VALU_DEP_3)
	v_add_f32_e32 v10, v32, v5
	v_dual_fmac_f32 v23, v12, v18 :: v_dual_sub_f32 v8, v5, v35
	v_dual_mul_f32 v11, v15, v26 :: v_dual_fmac_f32 v4, 0xbf167918, v9
	s_delay_alu instid0(VALU_DEP_4) | instskip(SKIP_1) | instid1(VALU_DEP_4)
	v_add_f32_e32 v1, v1, v35
	v_fmac_f32_e32 v0, 0x3f737871, v7
	v_add_f32_e32 v12, v6, v8
	s_delay_alu instid0(VALU_DEP_4) | instskip(SKIP_4) | instid1(VALU_DEP_3)
	v_fma_f32 v25, v14, v27, -v11
	v_sub_f32_e32 v11, v35, v5
	v_dual_add_f32 v8, v1, v5 :: v_dual_sub_f32 v1, v34, v32
	v_dual_fmac_f32 v0, 0x3f167918, v9 :: v_dual_add_f32 v15, v13, v16
	v_fma_f32 v6, -0.5, v10, v28
	v_dual_fmac_f32 v4, 0x3e9e377a, v12 :: v_dual_add_f32 v11, v1, v11
	s_delay_alu instid0(VALU_DEP_3) | instskip(NEXT) | instid1(VALU_DEP_4)
	v_fmac_f32_e32 v0, 0x3e9e377a, v12
	v_fma_f32 v1, -0.5, v15, v29
	v_dual_sub_f32 v12, v34, v35 :: v_dual_sub_f32 v15, v21, v13
	v_add_f32_e32 v14, v29, v21
	v_sub_f32_e32 v18, v17, v16
	v_fmamk_f32 v10, v9, 0x3f737871, v6
	v_dual_fmac_f32 v6, 0xbf737871, v9 :: v_dual_sub_f32 v27, v25, v24
	s_delay_alu instid0(VALU_DEP_4) | instskip(NEXT) | instid1(VALU_DEP_4)
	v_add_f32_e32 v9, v14, v13
	v_dual_add_f32 v15, v15, v18 :: v_dual_sub_f32 v14, v32, v5
	s_delay_alu instid0(VALU_DEP_4) | instskip(NEXT) | instid1(VALU_DEP_4)
	v_fmac_f32_e32 v10, 0xbf167918, v7
	v_dual_fmac_f32 v6, 0x3f167918, v7 :: v_dual_sub_f32 v13, v13, v21
	s_delay_alu instid0(VALU_DEP_4) | instskip(NEXT) | instid1(VALU_DEP_4)
	v_add_f32_e32 v9, v9, v16
	v_dual_fmamk_f32 v5, v14, 0x3f737871, v1 :: v_dual_sub_f32 v16, v16, v17
	s_delay_alu instid0(VALU_DEP_4) | instskip(NEXT) | instid1(VALU_DEP_3)
	v_dual_add_f32 v7, v21, v17 :: v_dual_fmac_f32 v10, 0x3e9e377a, v11
	v_add_f32_e32 v9, v9, v17
	s_delay_alu instid0(VALU_DEP_3) | instskip(NEXT) | instid1(VALU_DEP_4)
	v_fmac_f32_e32 v5, 0x3f167918, v12
	v_dual_fmac_f32 v6, 0x3e9e377a, v11 :: v_dual_add_f32 v13, v13, v16
	s_delay_alu instid0(VALU_DEP_4) | instskip(NEXT) | instid1(VALU_DEP_3)
	v_fma_f32 v7, -0.5, v7, v29
	v_dual_add_f32 v16, v30, v33 :: v_dual_fmac_f32 v5, 0x3e9e377a, v15
	v_dual_fmac_f32 v1, 0xbf737871, v14 :: v_dual_sub_f32 v18, v38, v23
	s_delay_alu instid0(VALU_DEP_3) | instskip(SKIP_1) | instid1(VALU_DEP_3)
	v_fmamk_f32 v11, v12, 0xbf737871, v7
	v_dual_fmac_f32 v7, 0x3f737871, v12 :: v_dual_sub_f32 v26, v33, v38
	v_fmac_f32_e32 v1, 0xbf167918, v12
	v_mad_co_u64_u32 v[34:35], null, s6, v54, 0
	s_delay_alu instid0(VALU_DEP_4) | instskip(NEXT) | instid1(VALU_DEP_3)
	v_fmac_f32_e32 v11, 0x3f167918, v14
	v_fmac_f32_e32 v1, 0x3e9e377a, v15
	v_add_f32_e32 v15, v16, v37
	v_sub_f32_e32 v16, v33, v37
	s_delay_alu instid0(VALU_DEP_1) | instskip(NEXT) | instid1(VALU_DEP_1)
	v_dual_add_f32 v17, v37, v23 :: v_dual_add_f32 v18, v16, v18
	v_fma_f32 v12, -0.5, v17, v30
	v_sub_f32_e32 v19, v22, v24
	v_sub_f32_e32 v17, v20, v25
	v_fmac_f32_e32 v7, 0xbf167918, v14
	s_delay_alu instid0(VALU_DEP_2) | instskip(NEXT) | instid1(VALU_DEP_1)
	v_dual_fmamk_f32 v14, v17, 0xbf737871, v12 :: v_dual_add_f32 v15, v15, v23
	v_fmac_f32_e32 v14, 0xbf167918, v19
	v_dual_fmac_f32 v12, 0x3f737871, v17 :: v_dual_add_f32 v21, v33, v38
	s_delay_alu instid0(VALU_DEP_3) | instskip(NEXT) | instid1(VALU_DEP_3)
	v_dual_fmac_f32 v11, 0x3e9e377a, v13 :: v_dual_add_f32 v16, v15, v38
	v_fmac_f32_e32 v14, 0x3e9e377a, v18
	s_delay_alu instid0(VALU_DEP_3) | instskip(NEXT) | instid1(VALU_DEP_4)
	v_fmac_f32_e32 v12, 0x3f167918, v19
	v_fma_f32 v30, -0.5, v21, v30
	s_delay_alu instid0(VALU_DEP_2) | instskip(NEXT) | instid1(VALU_DEP_2)
	v_fmac_f32_e32 v12, 0x3e9e377a, v18
	v_dual_fmamk_f32 v18, v19, 0x3f737871, v30 :: v_dual_sub_f32 v15, v37, v33
	v_dual_fmac_f32 v30, 0xbf737871, v19 :: v_dual_sub_f32 v21, v23, v38
	s_delay_alu instid0(VALU_DEP_2) | instskip(SKIP_1) | instid1(VALU_DEP_3)
	v_dual_sub_f32 v23, v37, v23 :: v_dual_fmac_f32 v18, 0xbf167918, v17
	v_fmac_f32_e32 v7, 0x3e9e377a, v13
	v_fmac_f32_e32 v30, 0x3f167918, v17
	s_delay_alu instid0(VALU_DEP_4) | instskip(SKIP_3) | instid1(VALU_DEP_3)
	v_add_f32_e32 v21, v15, v21
	v_add_f32_e32 v19, v31, v20
	;; [unrolled: 1-line block ×3, first 2 shown]
	v_mad_co_u64_u32 v[36:37], null, s4, v83, 0
	v_dual_fmac_f32 v18, 0x3e9e377a, v21 :: v_dual_add_f32 v17, v19, v22
	v_fmac_f32_e32 v30, 0x3e9e377a, v21
	v_add_f32_e32 v19, v20, v25
	v_fma_f32 v13, -0.5, v13, v31
	v_dual_sub_f32 v21, v20, v22 :: v_dual_sub_f32 v20, v22, v20
	s_delay_alu instid0(VALU_DEP_3) | instskip(NEXT) | instid1(VALU_DEP_3)
	v_dual_sub_f32 v22, v24, v25 :: v_dual_fmac_f32 v31, -0.5, v19
	v_fmamk_f32 v15, v26, 0x3f737871, v13
	v_fmac_f32_e32 v13, 0xbf737871, v26
	v_add_f32_e32 v17, v17, v24
	v_add_f32_e32 v21, v21, v27
	v_fmamk_f32 v19, v23, 0xbf737871, v31
	v_fmac_f32_e32 v31, 0x3f737871, v23
	v_dual_fmac_f32 v15, 0x3f167918, v23 :: v_dual_add_f32 v20, v20, v22
	v_fmac_f32_e32 v13, 0xbf167918, v23
	s_delay_alu instid0(VALU_DEP_4) | instskip(NEXT) | instid1(VALU_DEP_4)
	v_fmac_f32_e32 v19, 0x3f167918, v26
	v_fmac_f32_e32 v31, 0xbf167918, v26
	v_add_f32_e32 v17, v17, v25
	v_fmac_f32_e32 v15, 0x3e9e377a, v21
	v_fmac_f32_e32 v13, 0x3e9e377a, v21
	;; [unrolled: 1-line block ×4, first 2 shown]
	ds_store_2addr_b64 v81, v[8:9], v[4:5] offset1:56
	ds_store_2addr_b64 v81, v[10:11], v[6:7] offset0:112 offset1:168
	ds_store_2addr_b64 v3, v[0:1], v[16:17] offset0:96 offset1:152
	;; [unrolled: 1-line block ×4, first 2 shown]
	global_wb scope:SCOPE_SE
	s_wait_dscnt 0x0
	s_barrier_signal -1
	s_barrier_wait -1
	global_inv scope:SCOPE_SE
	ds_load_2addr_b64 v[4:7], v3 offset0:96 offset1:152
	ds_load_2addr_b64 v[8:11], v2 offset0:80 offset1:136
	;; [unrolled: 1-line block ×3, first 2 shown]
	ds_load_2addr_b64 v[16:19], v81 offset1:56
	ds_load_2addr_b64 v[20:23], v81 offset0:112 offset1:168
	v_mad_co_u64_u32 v[38:39], null, s7, v54, v[35:36]
	s_delay_alu instid0(VALU_DEP_1)
	v_mad_co_u64_u32 v[39:40], null, s5, v83, v[37:38]
	s_wait_dscnt 0x4
	v_dual_mov_b32 v35, v38 :: v_dual_mul_f32 v0, v76, v7
	v_mul_f32_e32 v1, v76, v6
	s_wait_dscnt 0x3
	v_mul_f32_e32 v24, v80, v9
	v_mul_f32_e32 v25, v80, v8
	;; [unrolled: 1-line block ×3, first 2 shown]
	v_fmac_f32_e32 v0, v75, v6
	v_mul_f32_e32 v6, v72, v10
	v_fma_f32 v1, v75, v7, -v1
	v_fmac_f32_e32 v24, v79, v8
	v_fma_f32 v7, v79, v9, -v25
	s_wait_dscnt 0x2
	v_mul_f32_e32 v25, v74, v13
	v_mul_f32_e32 v8, v74, v12
	;; [unrolled: 1-line block ×3, first 2 shown]
	v_fma_f32 v11, v71, v11, -v6
	v_mul_f32_e32 v6, v78, v14
	v_dual_fmac_f32 v26, v71, v10 :: v_dual_fmac_f32 v25, v73, v12
	v_fma_f32 v28, v73, v13, -v8
	s_wait_dscnt 0x1
	v_dual_sub_f32 v0, v16, v0 :: v_dual_sub_f32 v1, v17, v1
	v_fmac_f32_e32 v27, v77, v14
	v_fma_f32 v15, v77, v15, -v6
	v_dual_sub_f32 v6, v18, v24 :: v_dual_sub_f32 v7, v19, v7
	s_delay_alu instid0(VALU_DEP_4)
	v_fma_f32 v8, v16, 2.0, -v0
	s_wait_dscnt 0x0
	v_sub_f32_e32 v10, v20, v26
	v_fma_f32 v9, v17, 2.0, -v1
	v_dual_sub_f32 v11, v21, v11 :: v_dual_sub_f32 v16, v22, v25
	v_sub_f32_e32 v17, v23, v28
	v_fma_f32 v12, v18, 2.0, -v6
	v_fma_f32 v13, v19, 2.0, -v7
	v_sub_f32_e32 v18, v4, v27
	v_sub_f32_e32 v19, v5, v15
	v_fma_f32 v14, v20, 2.0, -v10
	v_fma_f32 v15, v21, 2.0, -v11
	;; [unrolled: 1-line block ×6, first 2 shown]
	ds_store_b64 v81, v[0:1] offset:2240
	ds_store_2addr_b64 v81, v[8:9], v[12:13] offset1:56
	ds_store_2addr_b64 v2, v[6:7], v[10:11] offset0:80 offset1:136
	ds_store_2addr_b64 v81, v[14:15], v[20:21] offset0:112 offset1:168
	ds_store_b64 v81, v[4:5] offset:1792
	ds_store_2addr_b64 v2, v[16:17], v[18:19] offset0:192 offset1:248
	global_wb scope:SCOPE_SE
	s_wait_dscnt 0x0
	s_barrier_signal -1
	s_barrier_wait -1
	global_inv scope:SCOPE_SE
	ds_load_2addr_b64 v[4:7], v81 offset1:70
	ds_load_2addr_b64 v[8:11], v81 offset0:140 offset1:210
	ds_load_2addr_b64 v[12:15], v2 offset0:24 offset1:94
	s_wait_dscnt 0x2
	v_dual_mov_b32 v37, v39 :: v_dual_mul_f32 v0, v60, v5
	v_mul_f32_e32 v18, v64, v7
	s_wait_dscnt 0x1
	v_mul_f32_e32 v20, v66, v9
	s_wait_dscnt 0x0
	v_mul_f32_e32 v28, v56, v15
	v_mul_f32_e32 v24, v58, v11
	v_fmac_f32_e32 v0, v59, v4
	v_mul_f32_e32 v4, v60, v4
	v_fmac_f32_e32 v18, v63, v6
	v_dual_fmac_f32 v20, v65, v8 :: v_dual_mul_f32 v25, v58, v10
	s_delay_alu instid0(VALU_DEP_4) | instskip(NEXT) | instid1(VALU_DEP_4)
	v_cvt_f64_f32_e32 v[0:1], v0
	v_fma_f32 v4, v59, v5, -v4
	v_dual_mul_f32 v5, v64, v6 :: v_dual_mul_f32 v26, v62, v13
	v_dual_mul_f32 v27, v62, v12 :: v_dual_fmac_f32 v28, v55, v14
	s_delay_alu instid0(VALU_DEP_3) | instskip(NEXT) | instid1(VALU_DEP_3)
	v_cvt_f64_f32_e32 v[16:17], v4
	v_fma_f32 v21, v63, v7, -v5
	ds_load_2addr_b64 v[4:7], v2 offset0:164 offset1:234
	v_mul_f32_e32 v14, v56, v14
	v_fmac_f32_e32 v24, v57, v10
	v_fma_f32 v25, v57, v11, -v25
	v_fmac_f32_e32 v26, v61, v12
	v_fma_f32 v27, v61, v13, -v27
	v_fma_f32 v14, v55, v15, -v14
	v_cvt_f64_f32_e32 v[10:11], v24
	v_cvt_f64_f32_e32 v[12:13], v25
	;; [unrolled: 1-line block ×5, first 2 shown]
	s_wait_dscnt 0x0
	v_mul_f32_e32 v32, v70, v7
	v_dual_mul_f32 v19, v66, v8 :: v_dual_mul_f32 v30, v68, v5
	v_mul_f32_e32 v31, v68, v4
	v_mul_f32_e32 v33, v70, v6
	s_delay_alu instid0(VALU_DEP_4) | instskip(NEXT) | instid1(VALU_DEP_4)
	v_fmac_f32_e32 v32, v69, v6
	v_fma_f32 v22, v65, v9, -v19
	v_cvt_f64_f32_e32 v[8:9], v18
	v_cvt_f64_f32_e32 v[18:19], v21
	v_fmac_f32_e32 v30, v67, v4
	v_fma_f32 v15, v67, v5, -v31
	v_fma_f32 v33, v69, v7, -v33
	v_cvt_f64_f32_e32 v[20:21], v20
	v_cvt_f64_f32_e32 v[22:23], v22
	;; [unrolled: 1-line block ×7, first 2 shown]
	s_wait_alu 0xfffe
	v_mul_f64_e32 v[0:1], s[2:3], v[0:1]
	v_mul_f64_e32 v[16:17], s[2:3], v[16:17]
	;; [unrolled: 1-line block ×16, first 2 shown]
	v_lshlrev_b64_e32 v[4:5], 3, v[34:35]
	v_cvt_f32_f64_e32 v0, v[0:1]
	v_cvt_f32_f64_e32 v1, v[16:17]
	v_lshlrev_b64_e32 v[34:35], 3, v[36:37]
	s_delay_alu instid0(VALU_DEP_4) | instskip(SKIP_3) | instid1(VALU_DEP_3)
	v_add_co_u32 v4, s0, s10, v4
	s_wait_alu 0xf1ff
	v_add_co_ci_u32_e64 v5, s0, s11, v5, s0
	v_cvt_f32_f64_e32 v10, v[10:11]
	v_add_co_u32 v16, s0, v4, v34
	s_wait_alu 0xf1ff
	s_delay_alu instid0(VALU_DEP_3)
	v_add_co_ci_u32_e64 v17, s0, v5, v35, s0
	s_mul_u64 s[0:1], s[4:5], 0x46
	v_cvt_f32_f64_e32 v11, v[12:13]
	s_wait_alu 0xfffe
	s_lshl_b64 s[6:7], s[0:1], 3
	v_cvt_f32_f64_e32 v12, v[24:25]
	v_cvt_f32_f64_e32 v13, v[26:27]
	;; [unrolled: 1-line block ×6, first 2 shown]
	s_wait_alu 0xfffe
	v_add_co_u32 v22, s0, v16, s6
	v_cvt_f32_f64_e32 v20, v[28:29]
	v_cvt_f32_f64_e32 v21, v[40:41]
	;; [unrolled: 1-line block ×4, first 2 shown]
	s_wait_alu 0xf1ff
	v_add_co_ci_u32_e64 v23, s0, s7, v17, s0
	v_cvt_f32_f64_e32 v14, v[30:31]
	v_cvt_f32_f64_e32 v15, v[32:33]
	v_add_co_u32 v24, s0, v22, s6
	s_wait_alu 0xf1ff
	v_add_co_ci_u32_e64 v25, s0, s7, v23, s0
	global_store_b64 v[16:17], v[0:1], off
	v_add_co_u32 v26, s0, v24, s6
	s_wait_alu 0xf1ff
	v_add_co_ci_u32_e64 v27, s0, s7, v25, s0
	s_delay_alu instid0(VALU_DEP_2) | instskip(SKIP_1) | instid1(VALU_DEP_2)
	v_add_co_u32 v28, s0, v26, s6
	s_wait_alu 0xf1ff
	v_add_co_ci_u32_e64 v29, s0, s7, v27, s0
	s_delay_alu instid0(VALU_DEP_2) | instskip(SKIP_1) | instid1(VALU_DEP_2)
	v_add_co_u32 v16, s0, v28, s6
	s_wait_alu 0xf1ff
	v_add_co_ci_u32_e64 v17, s0, s7, v29, s0
	global_store_b64 v[22:23], v[8:9], off
	v_add_co_u32 v8, s0, v16, s6
	s_wait_alu 0xf1ff
	v_add_co_ci_u32_e64 v9, s0, s7, v17, s0
	global_store_b64 v[24:25], v[18:19], off
	v_add_co_u32 v0, s0, v8, s6
	s_wait_alu 0xf1ff
	v_add_co_ci_u32_e64 v1, s0, s7, v9, s0
	s_clause 0x1
	global_store_b64 v[26:27], v[10:11], off
	global_store_b64 v[28:29], v[12:13], off
	;; [unrolled: 1-line block ×5, first 2 shown]
	s_and_b32 exec_lo, exec_lo, vcc_lo
	s_cbranch_execz .LBB0_23
; %bb.22:
	s_clause 0x3
	global_load_b64 v[14:15], v[52:53], off offset:448
	global_load_b64 v[16:17], v[52:53], off offset:1008
	;; [unrolled: 1-line block ×4, first 2 shown]
	ds_load_2addr_b64 v[6:9], v81 offset0:56 offset1:126
	ds_load_2addr_b64 v[10:13], v3 offset0:68 offset1:138
	v_mad_co_u64_u32 v[0:1], null, 0xfffff270, s4, v[0:1]
	s_mul_i32 s0, s5, 0xfffff270
	s_wait_alu 0xfffe
	s_sub_co_i32 s0, s0, s4
	s_wait_alu 0xfffe
	s_delay_alu instid0(VALU_DEP_1)
	v_add_nc_u32_e32 v1, s0, v1
	s_wait_loadcnt_dscnt 0x201
	v_dual_mul_f32 v3, v7, v15 :: v_dual_mul_f32 v22, v9, v17
	s_wait_loadcnt_dscnt 0x0
	v_dual_mul_f32 v15, v6, v15 :: v_dual_mul_f32 v24, v13, v21
	v_mul_f32_e32 v17, v8, v17
	s_delay_alu instid0(VALU_DEP_3) | instskip(NEXT) | instid1(VALU_DEP_3)
	v_dual_mul_f32 v23, v11, v19 :: v_dual_fmac_f32 v22, v8, v16
	v_dual_mul_f32 v19, v10, v19 :: v_dual_fmac_f32 v24, v12, v20
	v_mul_f32_e32 v21, v12, v21
	v_fmac_f32_e32 v3, v6, v14
	v_fma_f32 v14, v14, v7, -v15
	v_fma_f32 v15, v16, v9, -v17
	v_fmac_f32_e32 v23, v10, v18
	v_fma_f32 v16, v18, v11, -v19
	v_fma_f32 v20, v20, v13, -v21
	v_cvt_f64_f32_e32 v[6:7], v3
	v_cvt_f64_f32_e32 v[8:9], v14
	;; [unrolled: 1-line block ×8, first 2 shown]
	v_mul_f64_e32 v[6:7], s[2:3], v[6:7]
	v_mul_f64_e32 v[8:9], s[2:3], v[8:9]
	;; [unrolled: 1-line block ×8, first 2 shown]
	v_cvt_f32_f64_e32 v6, v[6:7]
	v_cvt_f32_f64_e32 v7, v[8:9]
	;; [unrolled: 1-line block ×8, first 2 shown]
	v_add_co_u32 v14, vcc_lo, v0, s6
	s_wait_alu 0xfffd
	v_add_co_ci_u32_e32 v15, vcc_lo, s7, v1, vcc_lo
	s_delay_alu instid0(VALU_DEP_2) | instskip(SKIP_1) | instid1(VALU_DEP_2)
	v_add_co_u32 v16, vcc_lo, v14, s6
	s_wait_alu 0xfffd
	v_add_co_ci_u32_e32 v17, vcc_lo, s7, v15, vcc_lo
	s_delay_alu instid0(VALU_DEP_2) | instskip(SKIP_1) | instid1(VALU_DEP_2)
	v_add_co_u32 v18, vcc_lo, v16, s6
	s_wait_alu 0xfffd
	v_add_co_ci_u32_e32 v19, vcc_lo, s7, v17, vcc_lo
	global_store_b64 v[0:1], v[6:7], off
	global_store_b64 v[14:15], v[8:9], off
	;; [unrolled: 1-line block ×4, first 2 shown]
	s_clause 0x1
	global_load_b64 v[6:7], v[52:53], off offset:2688
	global_load_b64 v[8:9], v[52:53], off offset:3248
	ds_load_2addr_b64 v[0:3], v2 offset0:80 offset1:150
	s_wait_loadcnt_dscnt 0x100
	v_mul_f32_e32 v10, v1, v7
	v_mul_f32_e32 v7, v0, v7
	s_wait_loadcnt 0x0
	v_mul_f32_e32 v11, v3, v9
	s_delay_alu instid0(VALU_DEP_3) | instskip(NEXT) | instid1(VALU_DEP_3)
	v_dual_mul_f32 v9, v2, v9 :: v_dual_fmac_f32 v10, v0, v6
	v_fma_f32 v6, v6, v1, -v7
	s_delay_alu instid0(VALU_DEP_3) | instskip(NEXT) | instid1(VALU_DEP_3)
	v_fmac_f32_e32 v11, v2, v8
	v_fma_f32 v8, v8, v3, -v9
	s_delay_alu instid0(VALU_DEP_4) | instskip(NEXT) | instid1(VALU_DEP_4)
	v_cvt_f64_f32_e32 v[0:1], v10
	v_cvt_f64_f32_e32 v[2:3], v6
	s_delay_alu instid0(VALU_DEP_4) | instskip(NEXT) | instid1(VALU_DEP_4)
	v_cvt_f64_f32_e32 v[6:7], v11
	v_cvt_f64_f32_e32 v[8:9], v8
	v_mad_co_u64_u32 v[10:11], null, s4, v82, 0
	v_mul_f64_e32 v[0:1], s[2:3], v[0:1]
	v_mul_f64_e32 v[2:3], s[2:3], v[2:3]
	;; [unrolled: 1-line block ×4, first 2 shown]
	s_delay_alu instid0(VALU_DEP_4) | instskip(NEXT) | instid1(VALU_DEP_4)
	v_cvt_f32_f64_e32 v0, v[0:1]
	v_cvt_f32_f64_e32 v1, v[2:3]
	s_delay_alu instid0(VALU_DEP_4) | instskip(NEXT) | instid1(VALU_DEP_4)
	v_cvt_f32_f64_e32 v2, v[6:7]
	v_cvt_f32_f64_e32 v3, v[8:9]
	v_mov_b32_e32 v6, v11
	s_delay_alu instid0(VALU_DEP_1) | instskip(SKIP_1) | instid1(VALU_DEP_1)
	v_mad_co_u64_u32 v[6:7], null, s5, v82, v[6:7]
	v_mad_co_u64_u32 v[7:8], null, 0x460, s4, v[18:19]
	v_dual_mov_b32 v11, v6 :: v_dual_mov_b32 v6, v8
	s_delay_alu instid0(VALU_DEP_1) | instskip(NEXT) | instid1(VALU_DEP_2)
	v_lshlrev_b64_e32 v[8:9], 3, v[10:11]
	v_mad_co_u64_u32 v[10:11], null, 0x460, s5, v[6:7]
	s_delay_alu instid0(VALU_DEP_2) | instskip(SKIP_1) | instid1(VALU_DEP_3)
	v_add_co_u32 v4, vcc_lo, v4, v8
	s_wait_alu 0xfffd
	v_add_co_ci_u32_e32 v5, vcc_lo, v5, v9, vcc_lo
	s_delay_alu instid0(VALU_DEP_3)
	v_mov_b32_e32 v8, v10
	global_store_b64 v[4:5], v[0:1], off
	global_store_b64 v[7:8], v[2:3], off
	global_load_b64 v[4:5], v[52:53], off offset:3808
	v_add_nc_u32_e32 v0, 0xc00, v81
	ds_load_2addr_b64 v[0:3], v0 offset0:92 offset1:162
	s_wait_loadcnt_dscnt 0x0
	v_mul_f32_e32 v6, v1, v5
	v_mul_f32_e32 v5, v0, v5
	s_delay_alu instid0(VALU_DEP_2) | instskip(NEXT) | instid1(VALU_DEP_2)
	v_fmac_f32_e32 v6, v0, v4
	v_fma_f32 v4, v4, v1, -v5
	s_delay_alu instid0(VALU_DEP_2) | instskip(NEXT) | instid1(VALU_DEP_2)
	v_cvt_f64_f32_e32 v[0:1], v6
	v_cvt_f64_f32_e32 v[4:5], v4
	s_delay_alu instid0(VALU_DEP_2) | instskip(NEXT) | instid1(VALU_DEP_2)
	v_mul_f64_e32 v[0:1], s[2:3], v[0:1]
	v_mul_f64_e32 v[4:5], s[2:3], v[4:5]
	s_delay_alu instid0(VALU_DEP_2) | instskip(NEXT) | instid1(VALU_DEP_2)
	v_cvt_f32_f64_e32 v0, v[0:1]
	v_cvt_f32_f64_e32 v1, v[4:5]
	v_add_co_u32 v4, vcc_lo, v7, s6
	s_wait_alu 0xfffd
	v_add_co_ci_u32_e32 v5, vcc_lo, s7, v8, vcc_lo
	global_store_b64 v[4:5], v[0:1], off
	global_load_b64 v[0:1], v[52:53], off offset:4368
	s_wait_loadcnt 0x0
	v_mul_f32_e32 v6, v3, v1
	v_mul_f32_e32 v1, v2, v1
	s_delay_alu instid0(VALU_DEP_2) | instskip(NEXT) | instid1(VALU_DEP_2)
	v_fmac_f32_e32 v6, v2, v0
	v_fma_f32 v2, v0, v3, -v1
	s_delay_alu instid0(VALU_DEP_2) | instskip(NEXT) | instid1(VALU_DEP_2)
	v_cvt_f64_f32_e32 v[0:1], v6
	v_cvt_f64_f32_e32 v[2:3], v2
	s_delay_alu instid0(VALU_DEP_2) | instskip(NEXT) | instid1(VALU_DEP_2)
	v_mul_f64_e32 v[0:1], s[2:3], v[0:1]
	v_mul_f64_e32 v[2:3], s[2:3], v[2:3]
	s_delay_alu instid0(VALU_DEP_2) | instskip(NEXT) | instid1(VALU_DEP_2)
	v_cvt_f32_f64_e32 v0, v[0:1]
	v_cvt_f32_f64_e32 v1, v[2:3]
	v_add_co_u32 v2, vcc_lo, v4, s6
	s_wait_alu 0xfffd
	v_add_co_ci_u32_e32 v3, vcc_lo, s7, v5, vcc_lo
	global_store_b64 v[2:3], v[0:1], off
.LBB0_23:
	s_nop 0
	s_sendmsg sendmsg(MSG_DEALLOC_VGPRS)
	s_endpgm
	.section	.rodata,"a",@progbits
	.p2align	6, 0x0
	.amdhsa_kernel bluestein_single_back_len560_dim1_sp_op_CI_CI
		.amdhsa_group_segment_fixed_size 4480
		.amdhsa_private_segment_fixed_size 0
		.amdhsa_kernarg_size 104
		.amdhsa_user_sgpr_count 2
		.amdhsa_user_sgpr_dispatch_ptr 0
		.amdhsa_user_sgpr_queue_ptr 0
		.amdhsa_user_sgpr_kernarg_segment_ptr 1
		.amdhsa_user_sgpr_dispatch_id 0
		.amdhsa_user_sgpr_private_segment_size 0
		.amdhsa_wavefront_size32 1
		.amdhsa_uses_dynamic_stack 0
		.amdhsa_enable_private_segment 0
		.amdhsa_system_sgpr_workgroup_id_x 1
		.amdhsa_system_sgpr_workgroup_id_y 0
		.amdhsa_system_sgpr_workgroup_id_z 0
		.amdhsa_system_sgpr_workgroup_info 0
		.amdhsa_system_vgpr_workitem_id 0
		.amdhsa_next_free_vgpr 120
		.amdhsa_next_free_sgpr 16
		.amdhsa_reserve_vcc 1
		.amdhsa_float_round_mode_32 0
		.amdhsa_float_round_mode_16_64 0
		.amdhsa_float_denorm_mode_32 3
		.amdhsa_float_denorm_mode_16_64 3
		.amdhsa_fp16_overflow 0
		.amdhsa_workgroup_processor_mode 1
		.amdhsa_memory_ordered 1
		.amdhsa_forward_progress 0
		.amdhsa_round_robin_scheduling 0
		.amdhsa_exception_fp_ieee_invalid_op 0
		.amdhsa_exception_fp_denorm_src 0
		.amdhsa_exception_fp_ieee_div_zero 0
		.amdhsa_exception_fp_ieee_overflow 0
		.amdhsa_exception_fp_ieee_underflow 0
		.amdhsa_exception_fp_ieee_inexact 0
		.amdhsa_exception_int_div_zero 0
	.end_amdhsa_kernel
	.text
.Lfunc_end0:
	.size	bluestein_single_back_len560_dim1_sp_op_CI_CI, .Lfunc_end0-bluestein_single_back_len560_dim1_sp_op_CI_CI
                                        ; -- End function
	.section	.AMDGPU.csdata,"",@progbits
; Kernel info:
; codeLenInByte = 12168
; NumSgprs: 18
; NumVgprs: 120
; ScratchSize: 0
; MemoryBound: 0
; FloatMode: 240
; IeeeMode: 1
; LDSByteSize: 4480 bytes/workgroup (compile time only)
; SGPRBlocks: 2
; VGPRBlocks: 14
; NumSGPRsForWavesPerEU: 18
; NumVGPRsForWavesPerEU: 120
; Occupancy: 12
; WaveLimiterHint : 1
; COMPUTE_PGM_RSRC2:SCRATCH_EN: 0
; COMPUTE_PGM_RSRC2:USER_SGPR: 2
; COMPUTE_PGM_RSRC2:TRAP_HANDLER: 0
; COMPUTE_PGM_RSRC2:TGID_X_EN: 1
; COMPUTE_PGM_RSRC2:TGID_Y_EN: 0
; COMPUTE_PGM_RSRC2:TGID_Z_EN: 0
; COMPUTE_PGM_RSRC2:TIDIG_COMP_CNT: 0
	.text
	.p2alignl 7, 3214868480
	.fill 96, 4, 3214868480
	.type	__hip_cuid_671f3a487616dca5,@object ; @__hip_cuid_671f3a487616dca5
	.section	.bss,"aw",@nobits
	.globl	__hip_cuid_671f3a487616dca5
__hip_cuid_671f3a487616dca5:
	.byte	0                               ; 0x0
	.size	__hip_cuid_671f3a487616dca5, 1

	.ident	"AMD clang version 19.0.0git (https://github.com/RadeonOpenCompute/llvm-project roc-6.4.0 25133 c7fe45cf4b819c5991fe208aaa96edf142730f1d)"
	.section	".note.GNU-stack","",@progbits
	.addrsig
	.addrsig_sym __hip_cuid_671f3a487616dca5
	.amdgpu_metadata
---
amdhsa.kernels:
  - .args:
      - .actual_access:  read_only
        .address_space:  global
        .offset:         0
        .size:           8
        .value_kind:     global_buffer
      - .actual_access:  read_only
        .address_space:  global
        .offset:         8
        .size:           8
        .value_kind:     global_buffer
      - .actual_access:  read_only
        .address_space:  global
        .offset:         16
        .size:           8
        .value_kind:     global_buffer
      - .actual_access:  read_only
        .address_space:  global
        .offset:         24
        .size:           8
        .value_kind:     global_buffer
      - .actual_access:  read_only
        .address_space:  global
        .offset:         32
        .size:           8
        .value_kind:     global_buffer
      - .offset:         40
        .size:           8
        .value_kind:     by_value
      - .address_space:  global
        .offset:         48
        .size:           8
        .value_kind:     global_buffer
      - .address_space:  global
        .offset:         56
        .size:           8
        .value_kind:     global_buffer
      - .address_space:  global
        .offset:         64
        .size:           8
        .value_kind:     global_buffer
      - .address_space:  global
        .offset:         72
        .size:           8
        .value_kind:     global_buffer
      - .offset:         80
        .size:           4
        .value_kind:     by_value
      - .address_space:  global
        .offset:         88
        .size:           8
        .value_kind:     global_buffer
      - .address_space:  global
        .offset:         96
        .size:           8
        .value_kind:     global_buffer
    .group_segment_fixed_size: 4480
    .kernarg_segment_align: 8
    .kernarg_segment_size: 104
    .language:       OpenCL C
    .language_version:
      - 2
      - 0
    .max_flat_workgroup_size: 56
    .name:           bluestein_single_back_len560_dim1_sp_op_CI_CI
    .private_segment_fixed_size: 0
    .sgpr_count:     18
    .sgpr_spill_count: 0
    .symbol:         bluestein_single_back_len560_dim1_sp_op_CI_CI.kd
    .uniform_work_group_size: 1
    .uses_dynamic_stack: false
    .vgpr_count:     120
    .vgpr_spill_count: 0
    .wavefront_size: 32
    .workgroup_processor_mode: 1
amdhsa.target:   amdgcn-amd-amdhsa--gfx1201
amdhsa.version:
  - 1
  - 2
...

	.end_amdgpu_metadata
